;; amdgpu-corpus repo=ROCm/rocFFT kind=compiled arch=gfx1030 opt=O3
	.text
	.amdgcn_target "amdgcn-amd-amdhsa--gfx1030"
	.amdhsa_code_object_version 6
	.protected	fft_rtc_fwd_len595_factors_7_17_5_wgs_51_tpt_17_halfLds_dp_ip_CI_sbrr_dirReg ; -- Begin function fft_rtc_fwd_len595_factors_7_17_5_wgs_51_tpt_17_halfLds_dp_ip_CI_sbrr_dirReg
	.globl	fft_rtc_fwd_len595_factors_7_17_5_wgs_51_tpt_17_halfLds_dp_ip_CI_sbrr_dirReg
	.p2align	8
	.type	fft_rtc_fwd_len595_factors_7_17_5_wgs_51_tpt_17_halfLds_dp_ip_CI_sbrr_dirReg,@function
fft_rtc_fwd_len595_factors_7_17_5_wgs_51_tpt_17_halfLds_dp_ip_CI_sbrr_dirReg: ; @fft_rtc_fwd_len595_factors_7_17_5_wgs_51_tpt_17_halfLds_dp_ip_CI_sbrr_dirReg
; %bb.0:
	s_clause 0x1
	s_load_dwordx2 s[14:15], s[4:5], 0x18
	s_load_dwordx4 s[8:11], s[4:5], 0x0
	v_mul_u32_u24_e32 v1, 0xf10, v0
	s_mov_b64 s[62:63], s[2:3]
	s_mov_b64 s[60:61], s[0:1]
	v_mov_b32_e32 v6, 0
	s_add_u32 s60, s60, s7
	v_lshrrev_b32_e32 v1, 16, v1
	s_addc_u32 s61, s61, 0
	s_load_dwordx2 s[12:13], s[4:5], 0x50
	s_waitcnt lgkmcnt(0)
	s_load_dwordx2 s[2:3], s[14:15], 0x0
	v_mad_u64_u32 v[4:5], null, s6, 3, v[1:2]
	v_mov_b32_e32 v5, v6
	v_cmp_lt_u64_e64 s0, s[10:11], 2
	v_mov_b32_e32 v1, 0
	v_mov_b32_e32 v2, 0
	;; [unrolled: 1-line block ×4, first 2 shown]
	s_and_b32 vcc_lo, exec_lo, s0
	s_cbranch_vccnz .LBB0_8
; %bb.1:
	s_load_dwordx2 s[0:1], s[4:5], 0x10
	v_mov_b32_e32 v1, 0
	v_mov_b32_e32 v9, v5
	s_add_u32 s6, s14, 8
	v_mov_b32_e32 v2, 0
	v_mov_b32_e32 v8, v4
	s_addc_u32 s7, s15, 0
	s_mov_b64 s[18:19], 1
	s_waitcnt lgkmcnt(0)
	s_add_u32 s16, s0, 8
	s_addc_u32 s17, s1, 0
.LBB0_2:                                ; =>This Inner Loop Header: Depth=1
	s_load_dwordx2 s[20:21], s[16:17], 0x0
                                        ; implicit-def: $vgpr10_vgpr11
	s_mov_b32 s0, exec_lo
	s_waitcnt lgkmcnt(0)
	v_or_b32_e32 v7, s21, v9
	v_cmpx_ne_u64_e32 0, v[6:7]
	s_xor_b32 s1, exec_lo, s0
	s_cbranch_execz .LBB0_4
; %bb.3:                                ;   in Loop: Header=BB0_2 Depth=1
	v_cvt_f32_u32_e32 v3, s20
	v_cvt_f32_u32_e32 v5, s21
	s_sub_u32 s0, 0, s20
	s_subb_u32 s22, 0, s21
	v_fmac_f32_e32 v3, 0x4f800000, v5
	v_rcp_f32_e32 v3, v3
	v_mul_f32_e32 v3, 0x5f7ffffc, v3
	v_mul_f32_e32 v5, 0x2f800000, v3
	v_trunc_f32_e32 v5, v5
	v_fmac_f32_e32 v3, 0xcf800000, v5
	v_cvt_u32_f32_e32 v5, v5
	v_cvt_u32_f32_e32 v3, v3
	v_mul_lo_u32 v7, s0, v5
	v_mul_hi_u32 v10, s0, v3
	v_mul_lo_u32 v11, s22, v3
	v_add_nc_u32_e32 v7, v10, v7
	v_mul_lo_u32 v10, s0, v3
	v_add_nc_u32_e32 v7, v7, v11
	v_mul_hi_u32 v11, v3, v10
	v_mul_lo_u32 v12, v3, v7
	v_mul_hi_u32 v13, v3, v7
	v_mul_hi_u32 v14, v5, v10
	v_mul_lo_u32 v10, v5, v10
	v_mul_hi_u32 v15, v5, v7
	v_mul_lo_u32 v7, v5, v7
	v_add_co_u32 v11, vcc_lo, v11, v12
	v_add_co_ci_u32_e32 v12, vcc_lo, 0, v13, vcc_lo
	v_add_co_u32 v10, vcc_lo, v11, v10
	v_add_co_ci_u32_e32 v10, vcc_lo, v12, v14, vcc_lo
	v_add_co_ci_u32_e32 v11, vcc_lo, 0, v15, vcc_lo
	v_add_co_u32 v7, vcc_lo, v10, v7
	v_add_co_ci_u32_e32 v10, vcc_lo, 0, v11, vcc_lo
	v_add_co_u32 v3, vcc_lo, v3, v7
	v_add_co_ci_u32_e32 v5, vcc_lo, v5, v10, vcc_lo
	v_mul_hi_u32 v7, s0, v3
	v_mul_lo_u32 v11, s22, v3
	v_mul_lo_u32 v10, s0, v5
	v_add_nc_u32_e32 v7, v7, v10
	v_mul_lo_u32 v10, s0, v3
	v_add_nc_u32_e32 v7, v7, v11
	v_mul_hi_u32 v11, v3, v10
	v_mul_lo_u32 v12, v3, v7
	v_mul_hi_u32 v13, v3, v7
	v_mul_hi_u32 v14, v5, v10
	v_mul_lo_u32 v10, v5, v10
	v_mul_hi_u32 v15, v5, v7
	v_mul_lo_u32 v7, v5, v7
	v_add_co_u32 v11, vcc_lo, v11, v12
	v_add_co_ci_u32_e32 v12, vcc_lo, 0, v13, vcc_lo
	v_add_co_u32 v10, vcc_lo, v11, v10
	v_add_co_ci_u32_e32 v10, vcc_lo, v12, v14, vcc_lo
	v_add_co_ci_u32_e32 v11, vcc_lo, 0, v15, vcc_lo
	v_add_co_u32 v7, vcc_lo, v10, v7
	v_add_co_ci_u32_e32 v10, vcc_lo, 0, v11, vcc_lo
	v_add_co_u32 v3, vcc_lo, v3, v7
	v_add_co_ci_u32_e32 v5, vcc_lo, v5, v10, vcc_lo
	v_mul_hi_u32 v7, v8, v3
	v_mad_u64_u32 v[12:13], null, v9, v3, 0
	v_mad_u64_u32 v[10:11], null, v8, v5, 0
	;; [unrolled: 1-line block ×3, first 2 shown]
	v_add_co_u32 v3, vcc_lo, v7, v10
	v_add_co_ci_u32_e32 v5, vcc_lo, 0, v11, vcc_lo
	v_add_co_u32 v3, vcc_lo, v3, v12
	v_add_co_ci_u32_e32 v3, vcc_lo, v5, v13, vcc_lo
	v_add_co_ci_u32_e32 v5, vcc_lo, 0, v15, vcc_lo
	v_add_co_u32 v3, vcc_lo, v3, v14
	v_add_co_ci_u32_e32 v5, vcc_lo, 0, v5, vcc_lo
	v_mul_lo_u32 v7, s21, v3
	v_mad_u64_u32 v[10:11], null, s20, v3, 0
	v_mul_lo_u32 v12, s20, v5
	v_sub_co_u32 v10, vcc_lo, v8, v10
	v_add3_u32 v7, v11, v12, v7
	v_sub_nc_u32_e32 v11, v9, v7
	v_subrev_co_ci_u32_e64 v11, s0, s21, v11, vcc_lo
	v_add_co_u32 v12, s0, v3, 2
	v_add_co_ci_u32_e64 v13, s0, 0, v5, s0
	v_sub_co_u32 v14, s0, v10, s20
	v_sub_co_ci_u32_e32 v7, vcc_lo, v9, v7, vcc_lo
	v_subrev_co_ci_u32_e64 v11, s0, 0, v11, s0
	v_cmp_le_u32_e32 vcc_lo, s20, v14
	v_cmp_eq_u32_e64 s0, s21, v7
	v_cndmask_b32_e64 v14, 0, -1, vcc_lo
	v_cmp_le_u32_e32 vcc_lo, s21, v11
	v_cndmask_b32_e64 v15, 0, -1, vcc_lo
	v_cmp_le_u32_e32 vcc_lo, s20, v10
	;; [unrolled: 2-line block ×3, first 2 shown]
	v_cndmask_b32_e64 v16, 0, -1, vcc_lo
	v_cmp_eq_u32_e32 vcc_lo, s21, v11
	v_cndmask_b32_e64 v7, v16, v10, s0
	v_cndmask_b32_e32 v11, v15, v14, vcc_lo
	v_add_co_u32 v14, vcc_lo, v3, 1
	v_add_co_ci_u32_e32 v15, vcc_lo, 0, v5, vcc_lo
	v_cmp_ne_u32_e32 vcc_lo, 0, v11
	v_cndmask_b32_e32 v10, v15, v13, vcc_lo
	v_cndmask_b32_e32 v12, v14, v12, vcc_lo
	v_cmp_ne_u32_e32 vcc_lo, 0, v7
	v_cndmask_b32_e32 v11, v5, v10, vcc_lo
	v_cndmask_b32_e32 v10, v3, v12, vcc_lo
.LBB0_4:                                ;   in Loop: Header=BB0_2 Depth=1
	s_andn2_saveexec_b32 s0, s1
	s_cbranch_execz .LBB0_6
; %bb.5:                                ;   in Loop: Header=BB0_2 Depth=1
	v_cvt_f32_u32_e32 v3, s20
	s_sub_i32 s1, 0, s20
	v_mov_b32_e32 v11, v6
	v_rcp_iflag_f32_e32 v3, v3
	v_mul_f32_e32 v3, 0x4f7ffffe, v3
	v_cvt_u32_f32_e32 v3, v3
	v_mul_lo_u32 v5, s1, v3
	v_mul_hi_u32 v5, v3, v5
	v_add_nc_u32_e32 v3, v3, v5
	v_mul_hi_u32 v3, v8, v3
	v_mul_lo_u32 v5, v3, s20
	v_add_nc_u32_e32 v7, 1, v3
	v_sub_nc_u32_e32 v5, v8, v5
	v_subrev_nc_u32_e32 v10, s20, v5
	v_cmp_le_u32_e32 vcc_lo, s20, v5
	v_cndmask_b32_e32 v5, v5, v10, vcc_lo
	v_cndmask_b32_e32 v3, v3, v7, vcc_lo
	v_cmp_le_u32_e32 vcc_lo, s20, v5
	v_add_nc_u32_e32 v7, 1, v3
	v_cndmask_b32_e32 v10, v3, v7, vcc_lo
.LBB0_6:                                ;   in Loop: Header=BB0_2 Depth=1
	s_or_b32 exec_lo, exec_lo, s0
	s_load_dwordx2 s[0:1], s[6:7], 0x0
	v_mul_lo_u32 v3, v11, s20
	v_mul_lo_u32 v5, v10, s21
	v_mad_u64_u32 v[12:13], null, v10, s20, 0
	s_add_u32 s18, s18, 1
	s_addc_u32 s19, s19, 0
	s_add_u32 s6, s6, 8
	s_addc_u32 s7, s7, 0
	;; [unrolled: 2-line block ×3, first 2 shown]
	v_add3_u32 v3, v13, v5, v3
	v_sub_co_u32 v5, vcc_lo, v8, v12
	v_sub_co_ci_u32_e32 v3, vcc_lo, v9, v3, vcc_lo
	s_waitcnt lgkmcnt(0)
	v_mul_lo_u32 v7, s1, v5
	v_mul_lo_u32 v3, s0, v3
	v_mad_u64_u32 v[1:2], null, s0, v5, v[1:2]
	v_cmp_ge_u64_e64 s0, s[18:19], s[10:11]
	s_and_b32 vcc_lo, exec_lo, s0
	v_add3_u32 v2, v7, v2, v3
	s_cbranch_vccnz .LBB0_8
; %bb.7:                                ;   in Loop: Header=BB0_2 Depth=1
	v_mov_b32_e32 v8, v10
	v_mov_b32_e32 v9, v11
	s_branch .LBB0_2
.LBB0_8:
	s_lshl_b64 s[0:1], s[10:11], 3
	v_mul_hi_u32 v3, 0xf0f0f10, v0
	s_add_u32 s0, s14, s0
	s_addc_u32 s1, s15, s1
	s_load_dwordx2 s[4:5], s[4:5], 0x20
	s_load_dwordx2 s[0:1], s[0:1], 0x0
                                        ; implicit-def: $vgpr235
                                        ; implicit-def: $vgpr236
	v_mul_u32_u24_e32 v3, 17, v3
	v_sub_nc_u32_e32 v234, v0, v3
	s_waitcnt lgkmcnt(0)
	v_cmp_gt_u64_e32 vcc_lo, s[4:5], v[10:11]
	v_mad_u64_u32 v[0:1], null, s0, v10, v[1:2]
	v_add_nc_u32_e32 v2, 34, v234
	v_mul_lo_u32 v3, s0, v11
	v_mul_lo_u32 v5, s1, v10
	v_cmp_le_u64_e64 s0, s[4:5], v[10:11]
	buffer_store_dword v2, off, s[60:63], 0 offset:384 ; 4-byte Folded Spill
	v_add_nc_u32_e32 v2, 51, v234
	v_add3_u32 v1, v5, v1, v3
	buffer_store_dword v2, off, s[60:63], 0 offset:380 ; 4-byte Folded Spill
	v_add_nc_u32_e32 v2, 0x44, v234
	buffer_store_dword v2, off, s[60:63], 0 offset:376 ; 4-byte Folded Spill
                                        ; implicit-def: $vgpr2
                                        ; kill: killed $vgpr2
                                        ; implicit-def: $vgpr2
                                        ; kill: killed $vgpr2
	s_and_saveexec_b32 s1, s0
	s_xor_b32 s0, exec_lo, s1
	s_cbranch_execz .LBB0_10
; %bb.9:
	v_add_nc_u32_e32 v2, 51, v234
	v_add_nc_u32_e32 v235, 17, v234
	;; [unrolled: 1-line block ×3, first 2 shown]
	buffer_store_dword v2, off, s[60:63], 0 offset:8 ; 4-byte Folded Spill
	v_add_nc_u32_e32 v2, 0x44, v234
	buffer_store_dword v2, off, s[60:63], 0 offset:12 ; 4-byte Folded Spill
.LBB0_10:
	s_or_saveexec_b32 s1, s0
	v_lshlrev_b64 v[0:1], 4, v[0:1]
                                        ; implicit-def: $vgpr134_vgpr135
                                        ; implicit-def: $vgpr126_vgpr127
                                        ; implicit-def: $vgpr118_vgpr119
                                        ; implicit-def: $vgpr114_vgpr115
                                        ; implicit-def: $vgpr122_vgpr123
                                        ; implicit-def: $vgpr130_vgpr131
                                        ; implicit-def: $vgpr2_vgpr3
                                        ; implicit-def: $vgpr158_vgpr159
                                        ; implicit-def: $vgpr150_vgpr151
                                        ; implicit-def: $vgpr142_vgpr143
                                        ; implicit-def: $vgpr138_vgpr139
                                        ; implicit-def: $vgpr146_vgpr147
                                        ; implicit-def: $vgpr154_vgpr155
                                        ; implicit-def: $vgpr84_vgpr85
                                        ; implicit-def: $vgpr182_vgpr183
                                        ; implicit-def: $vgpr174_vgpr175
                                        ; implicit-def: $vgpr166_vgpr167
                                        ; implicit-def: $vgpr162_vgpr163
                                        ; implicit-def: $vgpr170_vgpr171
                                        ; implicit-def: $vgpr178_vgpr179
                                        ; implicit-def: $vgpr88_vgpr89
                                        ; implicit-def: $vgpr206_vgpr207
                                        ; implicit-def: $vgpr198_vgpr199
                                        ; implicit-def: $vgpr190_vgpr191
                                        ; implicit-def: $vgpr186_vgpr187
                                        ; implicit-def: $vgpr194_vgpr195
                                        ; implicit-def: $vgpr202_vgpr203
                                        ; implicit-def: $vgpr92_vgpr93
                                        ; implicit-def: $vgpr230_vgpr231
                                        ; implicit-def: $vgpr226_vgpr227
                                        ; implicit-def: $vgpr218_vgpr219
                                        ; implicit-def: $vgpr214_vgpr215
                                        ; implicit-def: $vgpr222_vgpr223
                                        ; implicit-def: $vgpr210_vgpr211
                                        ; implicit-def: $vgpr110_vgpr111
	buffer_store_dword v0, off, s[60:63], 0 offset:24 ; 4-byte Folded Spill
	buffer_store_dword v1, off, s[60:63], 0 offset:28 ; 4-byte Folded Spill
	s_xor_b32 exec_lo, exec_lo, s1
	s_cbranch_execz .LBB0_12
; %bb.11:
	v_add_nc_u32_e32 v9, 0x55, v234
	v_add_nc_u32_e32 v11, 0xaa, v234
	v_mad_u64_u32 v[0:1], null, s2, v234, 0
	v_add_nc_u32_e32 v13, 0xff, v234
	v_mad_u64_u32 v[2:3], null, s2, v9, 0
	v_mad_u64_u32 v[5:6], null, s2, v11, 0
	v_add_nc_u32_e32 v15, 0x154, v234
	v_add_nc_u32_e32 v17, 0x1a9, v234
	;; [unrolled: 1-line block ×4, first 2 shown]
	v_mad_u64_u32 v[7:8], null, s3, v234, v[1:2]
	v_mov_b32_e32 v1, v6
	v_mad_u64_u32 v[8:9], null, s3, v9, v[3:4]
	v_mad_u64_u32 v[9:10], null, s2, v13, 0
	;; [unrolled: 1-line block ×3, first 2 shown]
	v_mov_b32_e32 v1, v7
	s_clause 0x1
	buffer_load_dword v6, off, s[60:63], 0 offset:24
	buffer_load_dword v7, off, s[60:63], 0 offset:28
	v_mov_b32_e32 v3, v8
	v_add_nc_u32_e32 v26, 0xbb, v234
	v_add_nc_u32_e32 v28, 0x110, v234
	v_lshlrev_b64 v[0:1], 4, v[0:1]
	v_add_nc_u32_e32 v33, 0x165, v234
	v_lshlrev_b64 v[2:3], 4, v[2:3]
	v_mad_u64_u32 v[22:23], null, s2, v26, 0
	v_mad_u64_u32 v[24:25], null, s2, v28, 0
	v_add_nc_u32_e32 v30, 0x1ba, v234
	v_add_nc_u32_e32 v37, 0x20f, v234
	;; [unrolled: 1-line block ×7, first 2 shown]
	v_mad_u64_u32 v[35:36], null, s2, v236, 0
	v_add_nc_u32_e32 v47, 0x1cb, v234
	v_or_b32_e32 v50, 0x220, v234
	v_add_nc_u32_e32 v80, 51, v234
	v_add_nc_u32_e32 v56, 0xdd, v234
	;; [unrolled: 1-line block ×6, first 2 shown]
	v_mad_u64_u32 v[52:53], null, s2, v56, 0
	v_mad_u64_u32 v[54:55], null, s2, v58, 0
	v_add_nc_u32_e32 v79, 0x44, v234
	v_add_nc_u32_e32 v67, 0x99, v234
	;; [unrolled: 1-line block ×6, first 2 shown]
	v_mad_u64_u32 v[69:70], null, s2, v76, 0
	v_mad_u64_u32 v[74:75], null, s2, v78, 0
	s_waitcnt vmcnt(1)
	v_add_co_u32 v31, s0, s12, v6
	s_waitcnt vmcnt(0)
	v_add_co_ci_u32_e64 v32, s0, s13, v7, s0
	v_mov_b32_e32 v7, v10
	v_mov_b32_e32 v6, v11
	v_mad_u64_u32 v[11:12], null, s2, v15, 0
	v_add_co_u32 v0, s0, v31, v0
	v_mad_u64_u32 v[7:8], null, s3, v13, v[7:8]
	v_mad_u64_u32 v[13:14], null, s2, v17, 0
	v_mov_b32_e32 v8, v12
	v_lshlrev_b64 v[5:6], 4, v[5:6]
	v_add_co_ci_u32_e64 v1, s0, v32, v1, s0
	v_mov_b32_e32 v10, v7
	v_mad_u64_u32 v[7:8], null, s3, v15, v[8:9]
	v_add_co_u32 v2, s0, v31, v2
	v_lshlrev_b64 v[8:9], 4, v[9:10]
	v_mad_u64_u32 v[15:16], null, s2, v20, 0
	v_add_co_ci_u32_e64 v3, s0, v32, v3, s0
	v_mov_b32_e32 v10, v14
	v_mov_b32_e32 v12, v7
	v_add_co_u32 v5, s0, v31, v5
	v_add_co_ci_u32_e64 v6, s0, v32, v6, s0
	v_add_co_u32 v7, s0, v31, v8
	v_mad_u64_u32 v[17:18], null, s3, v17, v[10:11]
	v_lshlrev_b64 v[10:11], 4, v[11:12]
	v_add_co_ci_u32_e64 v8, s0, v32, v9, s0
	v_mov_b32_e32 v9, v16
	v_mad_u64_u32 v[18:19], null, s2, v235, 0
	v_mov_b32_e32 v14, v17
	v_add_nc_u32_e32 v17, 0x66, v234
	v_mad_u64_u32 v[20:21], null, s3, v20, v[9:10]
	v_add_co_u32 v9, s0, v31, v10
	v_add_co_ci_u32_e64 v10, s0, v32, v11, s0
	v_lshlrev_b64 v[11:12], 4, v[13:14]
	v_mov_b32_e32 v13, v19
	v_mov_b32_e32 v16, v20
	v_mad_u64_u32 v[20:21], null, s2, v17, 0
	s_clause 0x1
	global_load_dwordx4 v[108:111], v[0:1], off
	global_load_dwordx4 v[208:211], v[2:3], off
	v_mad_u64_u32 v[13:14], null, s3, v235, v[13:14]
	v_lshlrev_b64 v[14:15], 4, v[15:16]
	v_add_co_u32 v11, s0, v31, v11
	v_mov_b32_e32 v16, v21
	v_add_co_ci_u32_e64 v12, s0, v32, v12, s0
	v_mov_b32_e32 v19, v13
	v_add_co_u32 v13, s0, v31, v14
	v_mad_u64_u32 v[16:17], null, s3, v17, v[16:17]
	v_add_co_ci_u32_e64 v14, s0, v32, v15, s0
	v_mov_b32_e32 v15, v23
	v_lshlrev_b64 v[17:18], 4, v[18:19]
	v_mov_b32_e32 v19, v25
	v_mov_b32_e32 v21, v16
	v_mad_u64_u32 v[26:27], null, s3, v26, v[15:16]
	v_add_co_u32 v15, s0, v31, v17
	v_add_co_ci_u32_e64 v16, s0, v32, v18, s0
	v_lshlrev_b64 v[17:18], 4, v[20:21]
	v_mad_u64_u32 v[19:20], null, s3, v28, v[19:20]
	v_mov_b32_e32 v23, v26
	v_mad_u64_u32 v[26:27], null, s2, v33, 0
	v_mad_u64_u32 v[28:29], null, s2, v30, 0
	v_lshlrev_b64 v[20:21], 4, v[22:23]
	v_mov_b32_e32 v25, v19
	v_add_co_u32 v17, s0, v31, v17
	v_mov_b32_e32 v22, v27
	v_add_co_ci_u32_e64 v18, s0, v32, v18, s0
	v_add_co_u32 v19, s0, v31, v20
	v_mad_u64_u32 v[22:23], null, s3, v33, v[22:23]
	v_lshlrev_b64 v[23:24], 4, v[24:25]
	v_add_co_ci_u32_e64 v20, s0, v32, v21, s0
	v_mov_b32_e32 v21, v29
	v_mad_u64_u32 v[33:34], null, s2, v37, 0
	v_mov_b32_e32 v27, v22
	v_mad_u64_u32 v[29:30], null, s3, v30, v[21:22]
	v_add_co_u32 v21, s0, v31, v23
	v_add_co_ci_u32_e64 v22, s0, v32, v24, s0
	v_lshlrev_b64 v[24:25], 4, v[26:27]
	v_mov_b32_e32 v23, v34
	v_mad_u64_u32 v[26:27], null, s3, v37, v[23:24]
	v_add_co_u32 v23, s0, v31, v24
	v_lshlrev_b64 v[27:28], 4, v[28:29]
	v_add_co_ci_u32_e64 v24, s0, v32, v25, s0
	v_mov_b32_e32 v25, v36
	v_mad_u64_u32 v[37:38], null, s2, v39, 0
	v_mov_b32_e32 v34, v26
	v_mad_u64_u32 v[29:30], null, s3, v236, v[25:26]
	v_add_co_u32 v25, s0, v31, v27
	v_add_co_ci_u32_e64 v26, s0, v32, v28, s0
	v_lshlrev_b64 v[27:28], 4, v[33:34]
	v_mad_u64_u32 v[33:34], null, s2, v41, 0
	v_mov_b32_e32 v30, v38
	v_mov_b32_e32 v36, v29
	v_add_co_u32 v27, s0, v31, v27
	v_mad_u64_u32 v[29:30], null, s3, v39, v[30:31]
	v_mov_b32_e32 v30, v34
	v_lshlrev_b64 v[34:35], 4, v[35:36]
	v_mad_u64_u32 v[39:40], null, s2, v43, 0
	v_add_co_ci_u32_e64 v28, s0, v32, v28, s0
	v_mad_u64_u32 v[41:42], null, s3, v41, v[30:31]
	v_mov_b32_e32 v38, v29
	v_add_co_u32 v29, s0, v31, v34
	v_add_co_ci_u32_e64 v30, s0, v32, v35, s0
	v_lshlrev_b64 v[35:36], 4, v[37:38]
	v_mov_b32_e32 v37, v40
	v_mov_b32_e32 v34, v41
	v_mad_u64_u32 v[41:42], null, s2, v45, 0
	v_mad_u64_u32 v[37:38], null, s3, v43, v[37:38]
	;; [unrolled: 1-line block ×3, first 2 shown]
	v_lshlrev_b64 v[33:34], 4, v[33:34]
	v_mov_b32_e32 v38, v42
	v_add_co_u32 v35, s0, v31, v35
	v_mov_b32_e32 v40, v37
	v_add_co_ci_u32_e64 v36, s0, v32, v36, s0
	v_mad_u64_u32 v[37:38], null, s3, v45, v[38:39]
	v_lshlrev_b64 v[38:39], 4, v[39:40]
	v_mad_u64_u32 v[45:46], null, s2, v50, 0
	v_mov_b32_e32 v40, v44
	v_add_co_u32 v33, s0, v31, v33
	v_mov_b32_e32 v42, v37
	v_add_co_ci_u32_e64 v34, s0, v32, v34, s0
	v_add_co_u32 v37, s0, v31, v38
	v_mad_u64_u32 v[47:48], null, s3, v47, v[40:41]
	v_lshlrev_b64 v[40:41], 4, v[41:42]
	v_add_co_ci_u32_e64 v38, s0, v32, v39, s0
	v_mov_b32_e32 v39, v46
	v_mad_u64_u32 v[48:49], null, s2, v80, 0
	v_mov_b32_e32 v44, v47
	v_add_nc_u32_e32 v47, 0x88, v234
	v_mad_u64_u32 v[50:51], null, s3, v50, v[39:40]
	v_add_co_u32 v39, s0, v31, v40
	v_add_co_ci_u32_e64 v40, s0, v32, v41, s0
	v_lshlrev_b64 v[41:42], 4, v[43:44]
	v_mov_b32_e32 v43, v49
	v_mov_b32_e32 v46, v50
	v_mad_u64_u32 v[50:51], null, s2, v47, 0
	v_mad_u64_u32 v[43:44], null, s3, v80, v[43:44]
	v_lshlrev_b64 v[44:45], 4, v[45:46]
	v_add_co_u32 v41, s0, v31, v41
	v_mov_b32_e32 v46, v51
	v_add_co_ci_u32_e64 v42, s0, v32, v42, s0
	v_mov_b32_e32 v49, v43
	v_add_co_u32 v43, s0, v31, v44
	v_mad_u64_u32 v[46:47], null, s3, v47, v[46:47]
	v_add_co_ci_u32_e64 v44, s0, v32, v45, s0
	v_lshlrev_b64 v[47:48], 4, v[48:49]
	v_mov_b32_e32 v45, v53
	v_mov_b32_e32 v51, v46
	v_mad_u64_u32 v[45:46], null, s3, v56, v[45:46]
	v_add_co_u32 v46, s0, v31, v47
	v_add_co_ci_u32_e64 v47, s0, v32, v48, s0
	v_lshlrev_b64 v[48:49], 4, v[50:51]
	v_mov_b32_e32 v50, v55
	v_mad_u64_u32 v[56:57], null, s2, v60, 0
	v_mov_b32_e32 v53, v45
	v_mad_u64_u32 v[50:51], null, s3, v58, v[50:51]
	v_mad_u64_u32 v[58:59], null, s2, v62, 0
	v_lshlrev_b64 v[51:52], 4, v[52:53]
	v_mov_b32_e32 v45, v57
	v_add_co_u32 v48, s0, v31, v48
	v_mov_b32_e32 v55, v50
	v_add_co_ci_u32_e64 v49, s0, v32, v49, s0
	v_add_co_u32 v50, s0, v31, v51
	v_mad_u64_u32 v[60:61], null, s3, v60, v[45:46]
	v_mov_b32_e32 v45, v59
	v_add_co_ci_u32_e64 v51, s0, v32, v52, s0
	v_lshlrev_b64 v[52:53], 4, v[54:55]
	v_mad_u64_u32 v[54:55], null, s2, v63, 0
	v_mad_u64_u32 v[61:62], null, s3, v62, v[45:46]
	v_mov_b32_e32 v57, v60
	v_add_co_u32 v52, s0, v31, v52
	v_add_co_ci_u32_e64 v53, s0, v32, v53, s0
	v_mov_b32_e32 v45, v55
	v_mov_b32_e32 v59, v61
	v_mad_u64_u32 v[60:61], null, s2, v79, 0
	v_lshlrev_b64 v[56:57], 4, v[56:57]
	v_mad_u64_u32 v[62:63], null, s3, v63, v[45:46]
	v_lshlrev_b64 v[58:59], 4, v[58:59]
	v_mov_b32_e32 v45, v61
	v_add_co_u32 v56, s0, v31, v56
	v_mov_b32_e32 v55, v62
	v_mad_u64_u32 v[62:63], null, s2, v67, 0
	v_mad_u64_u32 v[64:65], null, s3, v79, v[45:46]
	;; [unrolled: 1-line block ×3, first 2 shown]
	v_lshlrev_b64 v[54:55], 4, v[54:55]
	v_add_co_ci_u32_e64 v57, s0, v32, v57, s0
	v_mov_b32_e32 v45, v63
	v_mov_b32_e32 v61, v64
	v_add_co_u32 v58, s0, v31, v58
	v_add_co_ci_u32_e64 v59, s0, v32, v59, s0
	v_mad_u64_u32 v[63:64], null, s3, v67, v[45:46]
	v_mov_b32_e32 v45, v66
	v_add_nc_u32_e32 v64, 0x143, v234
	v_lshlrev_b64 v[60:61], 4, v[60:61]
	v_add_co_u32 v54, s0, v31, v54
	v_mad_u64_u32 v[66:67], null, s3, v68, v[45:46]
	v_mad_u64_u32 v[67:68], null, s2, v64, 0
	v_lshlrev_b64 v[62:63], 4, v[62:63]
	v_add_co_ci_u32_e64 v55, s0, v32, v55, s0
	v_add_co_u32 v60, s0, v31, v60
	v_add_co_ci_u32_e64 v61, s0, v32, v61, s0
	v_mov_b32_e32 v45, v68
	v_add_co_u32 v62, s0, v31, v62
	v_add_co_ci_u32_e64 v63, s0, v32, v63, s0
	v_mad_u64_u32 v[71:72], null, s3, v64, v[45:46]
	v_mad_u64_u32 v[72:73], null, s2, v77, 0
	v_lshlrev_b64 v[64:65], 4, v[65:66]
	v_mov_b32_e32 v45, v70
	v_mov_b32_e32 v68, v71
	;; [unrolled: 1-line block ×3, first 2 shown]
	v_mad_u64_u32 v[70:71], null, s3, v76, v[45:46]
	v_mov_b32_e32 v45, v75
	v_add_co_u32 v64, s0, v31, v64
	v_mad_u64_u32 v[76:77], null, s3, v77, v[66:67]
	v_lshlrev_b64 v[66:67], 4, v[67:68]
	v_lshlrev_b64 v[68:69], 4, v[69:70]
	v_add_co_ci_u32_e64 v65, s0, v32, v65, s0
	v_mov_b32_e32 v73, v76
	v_mad_u64_u32 v[75:76], null, s3, v78, v[45:46]
	v_add_co_u32 v66, s0, v31, v66
	v_lshlrev_b64 v[0:1], 4, v[72:73]
	v_add_co_ci_u32_e64 v67, s0, v32, v67, s0
	v_add_co_u32 v68, s0, v31, v68
	v_lshlrev_b64 v[2:3], 4, v[74:75]
	v_add_co_ci_u32_e64 v69, s0, v32, v69, s0
	v_add_co_u32 v70, s0, v31, v0
	v_add_co_ci_u32_e64 v71, s0, v32, v1, s0
	v_add_co_u32 v31, s0, v31, v2
	v_add_co_ci_u32_e64 v32, s0, v32, v3, s0
	s_clause 0x20
	global_load_dwordx4 v[220:223], v[5:6], off
	global_load_dwordx4 v[212:215], v[7:8], off
	global_load_dwordx4 v[216:219], v[9:10], off
	global_load_dwordx4 v[224:227], v[11:12], off
	global_load_dwordx4 v[228:231], v[13:14], off
	global_load_dwordx4 v[90:93], v[15:16], off
	global_load_dwordx4 v[200:203], v[17:18], off
	global_load_dwordx4 v[192:195], v[19:20], off
	global_load_dwordx4 v[184:187], v[21:22], off
	global_load_dwordx4 v[188:191], v[23:24], off
	global_load_dwordx4 v[196:199], v[25:26], off
	global_load_dwordx4 v[204:207], v[27:28], off
	global_load_dwordx4 v[86:89], v[29:30], off
	global_load_dwordx4 v[176:179], v[35:36], off
	global_load_dwordx4 v[168:171], v[33:34], off
	global_load_dwordx4 v[160:163], v[37:38], off
	global_load_dwordx4 v[164:167], v[39:40], off
	global_load_dwordx4 v[172:175], v[41:42], off
	global_load_dwordx4 v[180:183], v[43:44], off
	global_load_dwordx4 v[82:85], v[46:47], off
	global_load_dwordx4 v[152:155], v[48:49], off
	global_load_dwordx4 v[144:147], v[50:51], off
	global_load_dwordx4 v[136:139], v[52:53], off
	global_load_dwordx4 v[140:143], v[56:57], off
	global_load_dwordx4 v[148:151], v[58:59], off
	global_load_dwordx4 v[156:159], v[54:55], off
	global_load_dwordx4 v[0:3], v[60:61], off
	global_load_dwordx4 v[128:131], v[62:63], off
	global_load_dwordx4 v[120:123], v[64:65], off
	global_load_dwordx4 v[112:115], v[66:67], off
	global_load_dwordx4 v[116:119], v[68:69], off
	global_load_dwordx4 v[124:127], v[70:71], off
	global_load_dwordx4 v[132:135], v[31:32], off
	buffer_store_dword v79, off, s[60:63], 0 offset:12 ; 4-byte Folded Spill
	buffer_store_dword v80, off, s[60:63], 0 offset:8 ; 4-byte Folded Spill
.LBB0_12:
	s_or_b32 exec_lo, exec_lo, s1
	s_waitcnt vmcnt(28)
	v_add_f64 v[7:8], v[228:229], v[208:209]
	v_add_f64 v[9:10], v[224:225], v[220:221]
	v_add_f64 v[11:12], v[222:223], -v[226:227]
	v_add_f64 v[13:14], v[216:217], v[212:213]
	v_add_f64 v[15:16], v[218:219], -v[214:215]
	v_add_f64 v[5:6], v[210:211], -v[230:231]
	s_waitcnt vmcnt(21)
	v_add_f64 v[19:20], v[204:205], v[200:201]
	v_add_f64 v[21:22], v[196:197], v[192:193]
	v_mul_hi_u32 v73, 0xaaaaaaab, v4
	s_mov_b32 s4, 0x37e14327
	s_mov_b32 s10, 0xe976ee23
	;; [unrolled: 1-line block ×7, first 2 shown]
	v_lshrrev_b32_e32 v73, 1, v73
	s_mov_b32 s17, 0x3fac98ee
	v_add_f64 v[23:24], v[194:195], -v[198:199]
	v_add_f64 v[25:26], v[190:191], -v[186:187]
	s_waitcnt vmcnt(14)
	v_add_f64 v[27:28], v[180:181], v[176:177]
	v_lshl_add_u32 v77, v73, 1, v73
	v_add_f64 v[29:30], v[172:173], v[168:169]
	v_add_f64 v[17:18], v[9:10], v[7:8]
	;; [unrolled: 1-line block ×3, first 2 shown]
	v_add_f64 v[43:44], v[7:8], -v[13:14]
	v_add_f64 v[45:46], v[15:16], -v[11:12]
	;; [unrolled: 1-line block ×4, first 2 shown]
	s_waitcnt vmcnt(7)
	v_add_f64 v[47:48], v[156:157], v[152:153]
	v_add_f64 v[51:52], v[148:149], v[144:145]
	;; [unrolled: 1-line block ×3, first 2 shown]
	v_add_f64 v[15:16], v[5:6], -v[15:16]
	v_sub_nc_u32_e32 v81, v4, v77
	v_add_f64 v[77:78], v[21:22], v[19:20]
	v_add_f64 v[7:8], v[9:10], -v[7:8]
	s_mov_b32 s6, 0xaaaaaaaa
	s_mov_b32 s20, 0xb247c609
	;; [unrolled: 1-line block ×9, first 2 shown]
	v_add_f64 v[17:18], v[13:14], v[17:18]
	v_add_f64 v[13:14], v[13:14], -v[9:10]
	v_mul_f64 v[43:44], v[43:44], s[4:5]
	v_mul_f64 v[45:46], v[45:46], s[10:11]
	;; [unrolled: 1-line block ×3, first 2 shown]
	s_mov_b32 s24, s20
	v_add_f64 v[35:36], v[164:165], v[160:161]
	v_add_f64 v[37:38], v[170:171], -v[174:175]
	v_add_f64 v[39:40], v[166:167], -v[162:163]
	;; [unrolled: 1-line block ×3, first 2 shown]
	v_add_f64 v[57:58], v[140:141], v[136:137]
	s_waitcnt vmcnt(0)
	v_add_f64 v[61:62], v[132:133], v[128:129]
	v_add_f64 v[63:64], v[124:125], v[120:121]
	;; [unrolled: 1-line block ×4, first 2 shown]
	v_add_f64 v[96:97], v[21:22], -v[19:20]
	v_add_f64 v[19:20], v[19:20], -v[31:32]
	;; [unrolled: 1-line block ×5, first 2 shown]
	v_add_f64 v[4:5], v[11:12], v[5:6]
	v_add_f64 v[31:32], v[31:32], v[77:78]
	;; [unrolled: 1-line block ×3, first 2 shown]
	v_mul_f64 v[9:10], v[13:14], s[16:17]
	v_fma_f64 v[11:12], v[13:14], s[16:17], v[43:44]
	v_fma_f64 v[13:14], v[15:16], s[20:21], v[45:46]
	v_fma_f64 v[45:46], v[49:50], s[14:15], -v[45:46]
	v_add_f64 v[49:50], v[51:52], v[47:48]
	v_fma_f64 v[15:16], v[15:16], s[24:25], -v[73:74]
	v_fma_f64 v[43:44], v[7:8], s[26:27], -v[43:44]
	s_mov_b32 s18, 0x37c3f68c
	s_mov_b32 s19, 0x3fdc38aa
	v_add_f64 v[53:54], v[146:147], -v[150:151]
	v_add_f64 v[55:56], v[142:143], -v[138:139]
	v_add_f64 v[65:66], v[116:117], v[112:113]
	v_add_f64 v[25:26], v[33:34], -v[25:26]
	v_add_f64 v[100:101], v[29:30], -v[27:28]
	;; [unrolled: 1-line block ×4, first 2 shown]
	v_add_f64 v[102:103], v[39:40], v[37:38]
	v_add_f64 v[73:74], v[51:52], -v[47:48]
	v_add_f64 v[51:52], v[57:58], -v[51:52]
	v_add_f64 v[77:78], v[63:64], v[61:62]
	v_mul_f64 v[98:99], v[98:99], s[10:11]
	v_fma_f64 v[17:18], v[17:18], s[6:7], v[75:76]
	v_fma_f64 v[6:7], v[7:8], s[22:23], -v[9:10]
	v_mul_u32_u24_e32 v10, 0x253, v81
	v_add_f64 v[8:9], v[39:40], -v[37:38]
	v_add_f64 v[37:38], v[37:38], -v[41:42]
	v_fma_f64 v[13:14], v[4:5], s[18:19], v[13:14]
	v_mul_f64 v[19:20], v[19:20], s[4:5]
	v_lshlrev_b32_e32 v233, 3, v10
	v_mul_f64 v[240:241], v[23:24], s[14:15]
	v_add_f64 v[90:91], v[90:91], v[31:32]
	v_add_f64 v[35:36], v[35:36], v[94:95]
	v_mul_f64 v[94:95], v[21:22], s[16:17]
	v_add_f64 v[49:50], v[57:58], v[49:50]
	v_fma_f64 v[45:46], v[4:5], s[18:19], v[45:46]
	v_fma_f64 v[4:5], v[4:5], s[18:19], v[15:16]
	v_add_f64 v[59:60], v[154:155], -v[158:159]
	v_add_f64 v[39:40], v[41:42], -v[39:40]
	v_add_f64 v[104:105], v[55:56], v[53:54]
	v_add_f64 v[47:48], v[47:48], -v[57:58]
	v_add_f64 v[33:34], v[79:80], v[33:34]
	v_add_f64 v[41:42], v[102:103], v[41:42]
	v_fma_f64 v[248:249], v[25:26], s[20:21], v[98:99]
	v_add_f64 v[10:11], v[11:12], v[17:18]
	v_add_f64 v[15:16], v[43:44], v[17:18]
	;; [unrolled: 1-line block ×3, first 2 shown]
	v_add_f64 v[17:18], v[61:62], -v[65:66]
	v_add_f64 v[43:44], v[65:66], -v[63:64]
	v_mul_f64 v[8:9], v[8:9], s[10:11]
	v_mul_f64 v[244:245], v[37:38], s[14:15]
	v_add_f64 v[65:66], v[65:66], v[77:78]
	v_mul_f64 v[77:78], v[51:52], s[16:17]
	v_fma_f64 v[21:22], v[21:22], s[16:17], v[19:20]
	v_fma_f64 v[23:24], v[23:24], s[14:15], -v[98:99]
	v_fma_f64 v[25:26], v[25:26], s[24:25], -v[240:241]
	v_fma_f64 v[31:32], v[31:32], s[6:7], v[90:91]
	v_add_f64 v[98:99], v[86:87], v[35:36]
	v_fma_f64 v[86:87], v[96:97], s[22:23], -v[94:95]
	v_fma_f64 v[19:20], v[96:97], s[26:27], -v[19:20]
	v_add_f64 v[81:82], v[82:83], v[49:50]
	v_add_nc_u32_e32 v239, 0, v233
	v_add_f64 v[106:107], v[55:56], -v[53:54]
	v_add_f64 v[55:56], v[59:60], -v[55:56]
	;; [unrolled: 1-line block ×4, first 2 shown]
	v_add_f64 v[57:58], v[13:14], v[10:11]
	v_add_f64 v[102:103], v[4:5], v[15:16]
	v_add_f64 v[242:243], v[6:7], -v[45:46]
	v_mad_u32_u24 v232, v234, 56, v239
	v_add_f64 v[6:7], v[45:46], v[6:7]
	v_fma_f64 v[37:38], v[37:38], s[14:15], -v[8:9]
	v_fma_f64 v[8:9], v[39:40], s[20:21], v[8:9]
	v_fma_f64 v[39:40], v[39:40], s[24:25], -v[244:245]
	v_add_f64 v[15:16], v[15:16], -v[4:5]
	v_add_f64 v[10:11], v[10:11], -v[13:14]
	v_fma_f64 v[23:24], v[33:34], s[18:19], v[23:24]
	v_fma_f64 v[25:26], v[33:34], s[18:19], v[25:26]
	v_add_f64 v[21:22], v[21:22], v[31:32]
	v_add_f64 v[69:70], v[118:119], -v[114:115]
	v_add_f64 v[71:72], v[130:131], -v[134:135]
	v_add_f64 v[19:20], v[19:20], v[31:32]
	v_fma_f64 v[49:50], v[49:50], s[6:7], v[81:82]
	v_add_f64 v[108:109], v[63:64], -v[61:62]
	v_mul_f64 v[27:28], v[27:28], s[4:5]
	v_mul_f64 v[79:80], v[29:30], s[16:17]
	;; [unrolled: 1-line block ×3, first 2 shown]
	ds_write2_b64 v232, v[75:76], v[57:58] offset1:1
	ds_write2_b64 v232, v[102:103], v[242:243] offset0:2 offset1:3
	v_fma_f64 v[75:76], v[33:34], s[18:19], v[248:249]
	v_fma_f64 v[33:34], v[35:36], s[6:7], v[98:99]
	v_add_f64 v[35:36], v[86:87], v[31:32]
	v_add_f64 v[31:32], v[104:105], v[59:60]
	v_fma_f64 v[59:60], v[73:74], s[22:23], -v[77:78]
	v_fma_f64 v[4:5], v[41:42], s[18:19], v[37:38]
	v_fma_f64 v[8:9], v[41:42], s[18:19], v[8:9]
	;; [unrolled: 1-line block ×3, first 2 shown]
	v_mad_i32_i24 v86, v235, 56, v239
	v_mul_f64 v[106:107], v[106:107], s[10:11]
	v_mul_f64 v[246:247], v[53:54], s[14:15]
	v_add_f64 v[61:62], v[69:70], v[67:68]
	v_add_f64 v[63:64], v[69:70], -v[67:68]
	v_add_f64 v[67:68], v[67:68], -v[71:72]
	;; [unrolled: 1-line block ×3, first 2 shown]
	v_mul_f64 v[17:18], v[17:18], s[4:5]
	v_fma_f64 v[29:30], v[29:30], s[16:17], v[27:28]
	v_fma_f64 v[79:80], v[100:101], s[22:23], -v[79:80]
	v_fma_f64 v[27:28], v[100:101], s[26:27], -v[27:28]
	v_fma_f64 v[51:52], v[51:52], s[16:17], v[47:48]
	v_fma_f64 v[47:48], v[73:74], s[26:27], -v[47:48]
	v_add_f64 v[0:1], v[0:1], v[65:66]
	v_add_f64 v[12:13], v[75:76], v[21:22]
	v_add_f64 v[21:22], v[21:22], -v[75:76]
	v_mul_f64 v[69:70], v[43:44], s[16:17]
	v_cmp_eq_u32_e64 s0, 0, v234
	v_add_f64 v[41:42], v[59:60], v[49:50]
	v_add_f64 v[59:60], v[35:36], -v[23:24]
	v_add_f64 v[23:24], v[23:24], v[35:36]
	v_add_f64 v[35:36], v[25:26], v[19:20]
	v_add_f64 v[19:20], v[19:20], -v[25:26]
	v_fma_f64 v[53:54], v[53:54], s[14:15], -v[106:107]
	v_fma_f64 v[73:74], v[55:56], s[20:21], v[106:107]
	v_fma_f64 v[55:56], v[55:56], s[24:25], -v[246:247]
	v_mul_f64 v[63:64], v[63:64], s[10:11]
	v_mul_f64 v[94:95], v[67:68], s[14:15]
	v_add_f64 v[61:62], v[61:62], v[71:72]
	v_fma_f64 v[43:44], v[43:44], s[16:17], v[17:18]
	v_add_f64 v[29:30], v[29:30], v[33:34]
	ds_write2_b64 v232, v[6:7], v[15:16] offset0:4 offset1:5
	ds_write_b64 v232, v[10:11] offset:48
	ds_write2_b64 v86, v[90:91], v[12:13] offset1:1
	buffer_store_dword v236, off, s[60:63], 0 offset:16 ; 4-byte Folded Spill
	ds_write2_b64 v86, v[35:36], v[59:60] offset0:2 offset1:3
	ds_write2_b64 v86, v[23:24], v[19:20] offset0:4 offset1:5
	ds_write_b64 v86, v[21:22] offset:48
	buffer_load_dword v6, off, s[60:63], 0 offset:8 ; 4-byte Folded Reload
	v_add_f64 v[37:38], v[79:80], v[33:34]
	v_add_f64 v[27:28], v[27:28], v[33:34]
	;; [unrolled: 1-line block ×3, first 2 shown]
	v_fma_f64 v[71:72], v[57:58], s[20:21], v[63:64]
	v_fma_f64 v[63:64], v[67:68], s[14:15], -v[63:64]
	v_fma_f64 v[57:58], v[57:58], s[24:25], -v[94:95]
	v_fma_f64 v[45:46], v[31:32], s[18:19], v[53:54]
	v_add_f64 v[47:48], v[47:48], v[49:50]
	v_fma_f64 v[49:50], v[31:32], s[18:19], v[73:74]
	v_fma_f64 v[31:32], v[31:32], s[18:19], v[55:56]
	v_mad_i32_i24 v91, v236, 56, v239
	v_fma_f64 v[65:66], v[65:66], s[6:7], v[0:1]
	v_fma_f64 v[69:70], v[108:109], s[22:23], -v[69:70]
	v_fma_f64 v[17:18], v[108:109], s[26:27], -v[17:18]
                                        ; implicit-def: $vgpr254_vgpr255
                                        ; implicit-def: $vgpr10_vgpr11
                                        ; implicit-def: $vgpr14_vgpr15
                                        ; implicit-def: $vgpr22_vgpr23
	v_add_f64 v[25:26], v[37:38], -v[4:5]
	v_add_f64 v[37:38], v[4:5], v[37:38]
	v_fma_f64 v[53:54], v[61:62], s[18:19], v[71:72]
	v_fma_f64 v[55:56], v[61:62], s[18:19], v[63:64]
	;; [unrolled: 1-line block ×3, first 2 shown]
	v_add_f64 v[61:62], v[8:9], v[29:30]
	v_add_f64 v[63:64], v[39:40], v[27:28]
	v_add_f64 v[27:28], v[27:28], -v[39:40]
	v_add_f64 v[8:9], v[29:30], -v[8:9]
	;; [unrolled: 1-line block ×3, first 2 shown]
	v_add_f64 v[39:40], v[45:46], v[41:42]
	v_add_f64 v[41:42], v[49:50], v[33:34]
	;; [unrolled: 1-line block ×6, first 2 shown]
	v_add_f64 v[31:32], v[47:48], -v[31:32]
	v_add_f64 v[33:34], v[33:34], -v[49:50]
	v_add_f64 v[47:48], v[53:54], v[43:44]
	v_add_f64 v[49:50], v[51:52], -v[55:56]
	v_add_f64 v[51:52], v[55:56], v[51:52]
	v_add_f64 v[55:56], v[57:58], v[17:18]
	v_add_f64 v[17:18], v[17:18], -v[57:58]
	v_add_f64 v[4:5], v[43:44], -v[53:54]
	s_waitcnt vmcnt(0)
	v_mad_i32_i24 v87, v6, 56, v239
	ds_write2_b64 v91, v[98:99], v[61:62] offset1:1
	ds_write2_b64 v91, v[63:64], v[25:26] offset0:2 offset1:3
	ds_write2_b64 v91, v[37:38], v[27:28] offset0:4 offset1:5
	ds_write_b64 v91, v[8:9] offset:48
	ds_write2_b64 v87, v[81:82], v[41:42] offset1:1
	buffer_load_dword v6, off, s[60:63], 0 offset:12 ; 4-byte Folded Reload
	ds_write2_b64 v87, v[45:46], v[29:30] offset0:2 offset1:3
	ds_write2_b64 v87, v[39:40], v[31:32] offset0:4 offset1:5
	ds_write_b64 v87, v[33:34] offset:48
                                        ; implicit-def: $vgpr26_vgpr27
                                        ; implicit-def: $vgpr30_vgpr31
                                        ; implicit-def: $vgpr34_vgpr35
	s_waitcnt vmcnt(0)
	v_mad_i32_i24 v90, v6, 56, v239
	v_lshlrev_b32_e32 v6, 3, v234
	ds_write2_b64 v90, v[0:1], v[47:48] offset1:1
	ds_write2_b64 v90, v[55:56], v[49:50] offset0:2 offset1:3
	ds_write2_b64 v90, v[51:52], v[17:18] offset0:4 offset1:5
	ds_write_b64 v90, v[4:5] offset:48
	v_add3_u32 v244, 0, v6, v233
	v_add_nc_u32_e32 v0, v239, v6
	v_lshl_add_u32 v1, v235, 3, v239
	buffer_store_dword v233, off, s[60:63], 0 offset:288 ; 4-byte Folded Spill
	s_waitcnt lgkmcnt(0)
	s_waitcnt_vscnt null, 0x0
	v_add_nc_u32_e32 v241, 0x400, v244
	v_add_nc_u32_e32 v240, 0x800, v244
	s_barrier
	buffer_gl0_inv
	ds_read2_b64 v[106:109], v244 offset0:35 offset1:52
	ds_read2_b64 v[102:105], v244 offset0:70 offset1:87
	;; [unrolled: 1-line block ×5, first 2 shown]
	buffer_store_dword v235, off, s[60:63], 0 offset:4 ; 4-byte Folded Spill
	buffer_store_dword v0, off, s[60:63], 0 ; 4-byte Folded Spill
	buffer_store_dword v1, off, s[60:63], 0 offset:20 ; 4-byte Folded Spill
	v_add_nc_u32_e32 v233, 0x1000, v244
	ds_read_b64 v[252:253], v0
	ds_read_b64 v[250:251], v1
	ds_read2_b64 v[80:83], v244 offset0:210 offset1:227
	ds_read2_b64 v[72:75], v241 offset0:117 offset1:134
	;; [unrolled: 1-line block ×11, first 2 shown]
                                        ; implicit-def: $vgpr18_vgpr19
	s_and_saveexec_b32 s1, s0
	s_cbranch_execz .LBB0_14
; %bb.13:
	v_add_nc_u32_e32 v0, 0x400, v239
	v_add_nc_u32_e32 v1, 0x800, v239
	;; [unrolled: 1-line block ×3, first 2 shown]
	ds_read2_b64 v[4:7], v239 offset0:34 offset1:69
	ds_read2_b64 v[32:35], v239 offset0:104 offset1:139
	;; [unrolled: 1-line block ×8, first 2 shown]
	ds_read_b64 v[254:255], v239 offset:4752
.LBB0_14:
	s_or_b32 exec_lo, exec_lo, s1
	v_add_f64 v[0:1], v[230:231], v[210:211]
	v_add_f64 v[210:211], v[226:227], v[222:223]
	v_add_f64 v[220:221], v[220:221], -v[224:225]
	v_add_f64 v[214:215], v[218:219], v[214:215]
	v_add_f64 v[212:213], v[216:217], -v[212:213]
	v_add_f64 v[112:113], v[116:117], -v[112:113]
	v_add_f64 v[208:209], v[208:209], -v[228:229]
	v_add_f64 v[128:129], v[128:129], -v[132:133]
	v_add_f64 v[114:115], v[118:119], v[114:115]
	v_add_f64 v[130:131], v[134:135], v[130:131]
	;; [unrolled: 1-line block ×3, first 2 shown]
	v_add_f64 v[120:121], v[120:121], -v[124:125]
	v_add_f64 v[138:139], v[142:143], v[138:139]
	v_add_f64 v[136:137], v[140:141], -v[136:137]
	v_add_f64 v[144:145], v[144:145], -v[148:149]
	;; [unrolled: 1-line block ×4, first 2 shown]
	s_waitcnt lgkmcnt(0)
	s_waitcnt_vscnt null, 0x0
	s_barrier
	buffer_gl0_inv
	v_add_f64 v[176:177], v[176:177], -v[180:181]
	v_add_f64 v[154:155], v[158:159], v[154:155]
	v_add_f64 v[146:147], v[150:151], v[146:147]
	;; [unrolled: 1-line block ×4, first 2 shown]
	v_add_f64 v[132:133], v[0:1], -v[214:215]
	v_add_f64 v[118:119], v[212:213], -v[220:221]
	v_add_f64 v[124:125], v[212:213], v[220:221]
	v_add_f64 v[126:127], v[208:209], -v[212:213]
	v_add_f64 v[134:135], v[214:215], -v[210:211]
	v_add_f64 v[170:171], v[174:175], v[170:171]
	v_add_f64 v[162:163], v[166:167], v[162:163]
	v_add_f64 v[0:1], v[210:211], -v[0:1]
	v_add_f64 v[152:153], v[152:153], -v[156:157]
	v_add_f64 v[202:203], v[206:207], v[202:203]
	v_add_f64 v[194:195], v[198:199], v[194:195]
	;; [unrolled: 1-line block ×3, first 2 shown]
	v_add_f64 v[180:181], v[122:123], -v[130:131]
	v_add_f64 v[172:173], v[160:161], v[168:169]
	v_add_f64 v[174:175], v[160:161], -v[168:169]
	v_add_f64 v[200:201], v[200:201], -v[204:205]
	;; [unrolled: 1-line block ×6, first 2 shown]
	v_add_f64 v[116:117], v[214:215], v[116:117]
	v_add_f64 v[182:183], v[136:137], -v[144:145]
	v_mul_f64 v[132:133], v[132:133], s[4:5]
	v_mul_f64 v[118:119], v[118:119], s[10:11]
	v_add_f64 v[124:125], v[124:125], v[208:209]
	v_add_f64 v[150:151], v[170:171], -v[178:179]
	v_add_f64 v[156:157], v[178:179], -v[162:163]
	;; [unrolled: 1-line block ×3, first 2 shown]
	v_add_f64 v[172:173], v[172:173], v[176:177]
	v_add_f64 v[176:177], v[146:147], v[154:155]
	v_add_f64 v[164:165], v[184:185], -v[192:193]
	v_add_f64 v[110:111], v[110:111], v[116:117]
	v_add_f64 v[166:167], v[200:201], -v[184:185]
	v_fma_f64 v[142:143], v[134:135], s[16:17], v[132:133]
	v_fma_f64 v[140:141], v[126:127], s[20:21], v[118:119]
	v_fma_f64 v[132:133], v[0:1], s[26:27], -v[132:133]
	v_mul_f64 v[156:157], v[156:157], s[4:5]
	v_fma_f64 v[116:117], v[116:117], s[6:7], v[110:111]
	v_fma_f64 v[140:141], v[124:125], s[18:19], v[140:141]
	v_add_f64 v[142:143], v[142:143], v[116:117]
	v_add_f64 v[148:149], v[142:143], -v[140:141]
	ds_write2_b64 v232, v[110:111], v[148:149] offset1:1
	v_add_f64 v[110:111], v[220:221], -v[208:209]
	v_add_f64 v[148:149], v[170:171], v[178:179]
	v_add_f64 v[178:179], v[146:147], -v[154:155]
	v_add_f64 v[154:155], v[154:155], -v[138:139]
	v_add_f64 v[146:147], v[138:139], -v[146:147]
	v_add_f64 v[138:139], v[138:139], v[176:177]
	v_add_f64 v[176:177], v[122:123], v[130:131]
	v_add_f64 v[130:131], v[130:131], -v[114:115]
	v_add_f64 v[122:123], v[114:115], -v[122:123]
	;; [unrolled: 1-line block ×3, first 2 shown]
	v_fma_f64 v[118:119], v[110:111], s[14:15], -v[118:119]
	v_mul_f64 v[110:111], v[110:111], s[14:15]
	v_add_f64 v[148:149], v[162:163], v[148:149]
	v_add_f64 v[162:163], v[184:185], v[192:193]
	v_add_f64 v[184:185], v[112:113], -v[120:121]
	v_mul_f64 v[154:155], v[154:155], s[4:5]
	v_add_f64 v[114:115], v[114:115], v[176:177]
	v_add_f64 v[176:177], v[136:137], v[144:145]
	v_add_f64 v[136:137], v[152:153], -v[136:137]
	v_add_f64 v[144:145], v[144:145], -v[152:153]
	v_mul_f64 v[130:131], v[130:131], s[4:5]
	v_add_f64 v[84:85], v[84:85], v[138:139]
	v_fma_f64 v[118:119], v[124:125], s[18:19], v[118:119]
	v_fma_f64 v[110:111], v[126:127], s[24:25], -v[110:111]
	v_mul_f64 v[126:127], v[134:135], s[16:17]
	v_add_f64 v[134:135], v[186:187], -v[194:195]
	v_add_f64 v[88:89], v[88:89], v[148:149]
	v_add_f64 v[162:163], v[162:163], v[200:201]
	;; [unrolled: 1-line block ×5, first 2 shown]
	v_add_f64 v[112:113], v[128:129], -v[112:113]
	v_add_f64 v[120:121], v[120:121], -v[128:129]
	v_fma_f64 v[138:139], v[138:139], s[6:7], v[84:85]
	v_fma_f64 v[110:111], v[124:125], s[18:19], v[110:111]
	v_fma_f64 v[0:1], v[0:1], s[22:23], -v[126:127]
	v_add_f64 v[124:125], v[132:133], v[116:117]
	v_add_f64 v[132:133], v[202:203], -v[186:187]
	v_fma_f64 v[148:149], v[148:149], s[6:7], v[88:89]
	v_fma_f64 v[114:115], v[114:115], s[6:7], v[2:3]
	v_add_f64 v[128:129], v[176:177], v[128:129]
	v_mul_f64 v[176:177], v[134:135], s[16:17]
	v_add_f64 v[0:1], v[0:1], v[116:117]
	v_add_f64 v[116:117], v[124:125], -v[110:111]
	v_mul_f64 v[132:133], v[132:133], s[4:5]
	v_add_f64 v[110:111], v[110:111], v[124:125]
	v_add_f64 v[126:127], v[118:119], v[0:1]
	v_add_f64 v[118:119], v[0:1], -v[118:119]
	v_fma_f64 v[134:135], v[134:135], s[16:17], v[132:133]
	ds_write2_b64 v232, v[116:117], v[126:127] offset0:2 offset1:3
	v_add_f64 v[126:127], v[194:195], -v[202:203]
	v_add_f64 v[116:117], v[194:195], v[202:203]
	v_fma_f64 v[176:177], v[126:127], s[22:23], -v[176:177]
	v_fma_f64 v[126:127], v[126:127], s[26:27], -v[132:133]
	v_mul_f64 v[132:133], v[164:165], s[10:11]
	v_mul_f64 v[164:165], v[170:171], s[14:15]
	v_add_f64 v[116:117], v[186:187], v[116:117]
	v_fma_f64 v[170:171], v[170:171], s[14:15], -v[132:133]
	v_fma_f64 v[132:133], v[166:167], s[20:21], v[132:133]
	v_fma_f64 v[164:165], v[166:167], s[24:25], -v[164:165]
	v_mul_f64 v[166:167], v[158:159], s[16:17]
	v_fma_f64 v[158:159], v[158:159], s[16:17], v[156:157]
	v_add_f64 v[92:93], v[92:93], v[116:117]
	v_fma_f64 v[166:167], v[150:151], s[22:23], -v[166:167]
	v_fma_f64 v[150:151], v[150:151], s[26:27], -v[156:157]
	v_mul_f64 v[156:157], v[174:175], s[10:11]
	v_mul_f64 v[174:175], v[168:169], s[14:15]
	v_fma_f64 v[0:1], v[116:117], s[6:7], v[92:93]
	v_add_f64 v[158:159], v[158:159], v[148:149]
	v_fma_f64 v[168:169], v[168:169], s[14:15], -v[156:157]
	v_fma_f64 v[156:157], v[160:161], s[20:21], v[156:157]
	v_fma_f64 v[160:161], v[160:161], s[24:25], -v[174:175]
	v_mul_f64 v[174:175], v[146:147], s[16:17]
	v_fma_f64 v[146:147], v[146:147], s[16:17], v[154:155]
	v_fma_f64 v[154:155], v[178:179], s[26:27], -v[154:155]
	v_add_f64 v[116:117], v[134:135], v[0:1]
	v_add_f64 v[124:125], v[176:177], v[0:1]
	;; [unrolled: 1-line block ×3, first 2 shown]
	v_fma_f64 v[126:127], v[162:163], s[18:19], v[132:133]
	v_fma_f64 v[132:133], v[162:163], s[18:19], v[164:165]
	;; [unrolled: 1-line block ×3, first 2 shown]
	v_add_f64 v[162:163], v[166:167], v[148:149]
	v_add_f64 v[148:149], v[150:151], v[148:149]
	v_fma_f64 v[150:151], v[172:173], s[18:19], v[156:157]
	v_fma_f64 v[156:157], v[172:173], s[18:19], v[160:161]
	v_fma_f64 v[174:175], v[178:179], s[22:23], -v[174:175]
	v_mul_f64 v[178:179], v[182:183], s[10:11]
	v_mul_f64 v[182:183], v[144:145], s[14:15]
	v_fma_f64 v[160:161], v[172:173], s[18:19], v[168:169]
	v_add_f64 v[146:147], v[146:147], v[138:139]
	v_add_f64 v[164:165], v[174:175], v[138:139]
	v_fma_f64 v[144:145], v[144:145], s[14:15], -v[178:179]
	v_fma_f64 v[178:179], v[136:137], s[20:21], v[178:179]
	v_fma_f64 v[136:137], v[136:137], s[24:25], -v[182:183]
	v_mul_f64 v[182:183], v[122:123], s[16:17]
	v_fma_f64 v[122:123], v[122:123], s[16:17], v[130:131]
	v_fma_f64 v[130:131], v[180:181], s[26:27], -v[130:131]
	v_add_f64 v[138:139], v[154:155], v[138:139]
	v_fma_f64 v[144:145], v[152:153], s[18:19], v[144:145]
	v_fma_f64 v[154:155], v[152:153], s[18:19], v[178:179]
	;; [unrolled: 1-line block ×3, first 2 shown]
	v_fma_f64 v[182:183], v[180:181], s[22:23], -v[182:183]
	v_mul_f64 v[180:181], v[184:185], s[10:11]
	v_mul_f64 v[184:185], v[120:121], s[14:15]
	v_add_f64 v[122:123], v[122:123], v[114:115]
	v_add_f64 v[152:153], v[182:183], v[114:115]
	v_fma_f64 v[120:121], v[120:121], s[14:15], -v[180:181]
	v_fma_f64 v[184:185], v[112:113], s[24:25], -v[184:185]
	v_fma_f64 v[112:113], v[112:113], s[20:21], v[180:181]
	v_add_f64 v[114:115], v[130:131], v[114:115]
	v_add_f64 v[130:131], v[140:141], v[142:143]
	v_add_f64 v[142:143], v[116:117], -v[126:127]
	v_add_f64 v[140:141], v[134:135], v[124:125]
	v_add_f64 v[124:125], v[124:125], -v[134:135]
	v_add_f64 v[134:135], v[0:1], -v[132:133]
	v_add_f64 v[132:133], v[132:133], v[0:1]
	v_add_f64 v[116:117], v[126:127], v[116:117]
	;; [unrolled: 1-line block ×3, first 2 shown]
	v_add_f64 v[160:161], v[162:163], -v[160:161]
	v_add_f64 v[162:163], v[148:149], -v[156:157]
	v_add_f64 v[148:149], v[156:157], v[148:149]
	v_add_f64 v[156:157], v[158:159], -v[150:151]
	v_add_f64 v[150:151], v[150:151], v[158:159]
	v_add_f64 v[158:159], v[144:145], v[164:165]
	v_add_f64 v[144:145], v[164:165], -v[144:145]
	v_add_f64 v[164:165], v[138:139], -v[136:137]
	v_add_f64 v[136:137], v[136:137], v[138:139]
	v_add_f64 v[138:139], v[146:147], -v[154:155]
	v_fma_f64 v[120:121], v[128:129], s[18:19], v[120:121]
	v_add_f64 v[146:147], v[154:155], v[146:147]
	v_fma_f64 v[112:113], v[128:129], s[18:19], v[112:113]
	v_fma_f64 v[128:129], v[128:129], s[18:19], v[184:185]
	v_add_f64 v[154:155], v[120:121], v[152:153]
	v_add_f64 v[120:121], v[152:153], -v[120:121]
	v_add_f64 v[0:1], v[112:113], v[122:123]
	v_add_f64 v[152:153], v[114:115], -v[128:129]
	;; [unrolled: 2-line block ×3, first 2 shown]
	ds_write2_b64 v232, v[118:119], v[110:111] offset0:4 offset1:5
	ds_write_b64 v232, v[130:131] offset:48
	ds_write2_b64 v86, v[92:93], v[142:143] offset1:1
	ds_write2_b64 v86, v[134:135], v[140:141] offset0:2 offset1:3
	ds_write2_b64 v86, v[124:125], v[132:133] offset0:4 offset1:5
	ds_write_b64 v86, v[116:117] offset:48
	ds_write2_b64 v91, v[88:89], v[156:157] offset1:1
	ds_write2_b64 v91, v[162:163], v[126:127] offset0:2 offset1:3
	;; [unrolled: 4-line block ×4, first 2 shown]
	ds_write2_b64 v90, v[120:121], v[114:115] offset0:4 offset1:5
	ds_write_b64 v90, v[0:1] offset:48
	s_waitcnt lgkmcnt(0)
	s_barrier
	buffer_gl0_inv
	ds_read2_b64 v[190:193], v244 offset0:35 offset1:52
	ds_read2_b64 v[186:189], v244 offset0:70 offset1:87
	;; [unrolled: 1-line block ×14, first 2 shown]
	buffer_load_dword v2, off, s[60:63], 0  ; 4-byte Folded Reload
                                        ; implicit-def: $vgpr232_vgpr233
                                        ; implicit-def: $vgpr86_vgpr87
                                        ; implicit-def: $vgpr90_vgpr91
                                        ; implicit-def: $vgpr112_vgpr113
                                        ; implicit-def: $vgpr116_vgpr117
                                        ; implicit-def: $vgpr120_vgpr121
                                        ; implicit-def: $vgpr124_vgpr125
                                        ; implicit-def: $vgpr128_vgpr129
	s_waitcnt vmcnt(0)
	ds_read_b64 v[228:229], v2
	buffer_load_dword v2, off, s[60:63], 0 offset:4 ; 4-byte Folded Reload
	s_waitcnt vmcnt(0)
	v_lshl_add_u32 v2, v2, 3, v239
	ds_read_b64 v[194:195], v2
	ds_read2_b64 v[174:177], v244 offset0:175 offset1:192
	ds_read2_b64 v[170:173], v244 offset0:210 offset1:227
	s_and_saveexec_b32 s1, s0
	s_cbranch_execz .LBB0_16
; %bb.15:
	v_add_nc_u32_e32 v84, 0x400, v239
	v_add_nc_u32_e32 v85, 0x800, v239
	v_add_nc_u32_e32 v86, 0x1000, v239
	ds_read2_b64 v[0:3], v239 offset0:34 offset1:69
	ds_read2_b64 v[126:129], v239 offset0:104 offset1:139
	;; [unrolled: 1-line block ×8, first 2 shown]
	ds_read_b64 v[232:233], v239 offset:4752
.LBB0_16:
	s_or_b32 exec_lo, exec_lo, s1
	v_and_b32_e32 v92, 0xff, v234
	v_mov_b32_e32 v198, 8
	s_mov_b32 s6, 0x5d8e7cdc
	s_mov_b32 s26, 0x2a9d6da3
	;; [unrolled: 1-line block ×3, first 2 shown]
	v_mul_lo_u16 v92, v92, 37
	s_mov_b32 s38, 0xeb564b22
	s_mov_b32 s20, 0x923c349f
	;; [unrolled: 1-line block ×4, first 2 shown]
	v_lshrrev_b16 v92, 8, v92
	s_mov_b32 s36, 0xacd6c6b4
	s_mov_b32 s7, 0xbfd71e95
	;; [unrolled: 1-line block ×4, first 2 shown]
	v_sub_nc_u16 v93, v234, v92
	s_mov_b32 s39, 0xbfefdd0d
	s_mov_b32 s21, 0xbfeec746
	;; [unrolled: 1-line block ×4, first 2 shown]
	v_lshrrev_b16 v93, 1, v93
	s_mov_b32 s37, 0xbfc7851a
	s_mov_b32 s4, 0x370991
	;; [unrolled: 1-line block ×4, first 2 shown]
	v_and_b32_e32 v93, 0x7f, v93
	s_mov_b32 s16, 0x3259b75e
	s_mov_b32 s18, 0xc61f0d01
	;; [unrolled: 1-line block ×4, first 2 shown]
	v_add_nc_u16 v92, v93, v92
	s_mov_b32 s34, 0x7faef3
	s_mov_b32 s5, 0x3fedd6d0
	;; [unrolled: 1-line block ×4, first 2 shown]
	v_lshrrev_b16 v197, 2, v92
	s_mov_b32 s17, 0x3fb79ee6
	s_mov_b32 s19, 0xbfd183b1
	;; [unrolled: 1-line block ×4, first 2 shown]
	v_mul_lo_u16 v92, v197, 7
	s_mov_b32 s35, 0xbfef7484
	s_mov_b32 s49, 0x3fe0d888
	;; [unrolled: 1-line block ×4, first 2 shown]
	v_sub_nc_u16 v196, v234, v92
	s_mov_b32 s46, s20
	s_mov_b32 s43, 0x3feca52d
	;; [unrolled: 1-line block ×4, first 2 shown]
	v_lshlrev_b32_sdwa v239, v198, v196 dst_sel:DWORD dst_unused:UNUSED_PAD src0_sel:DWORD src1_sel:BYTE_0
	s_mov_b32 s44, s6
	s_mov_b32 s53, 0x3fc7851a
	;; [unrolled: 1-line block ×4, first 2 shown]
	s_clause 0x3
	global_load_dwordx4 v[199:202], v239, s[8:9] offset:48
	global_load_dwordx4 v[203:206], v239, s[8:9] offset:32
	;; [unrolled: 1-line block ×3, first 2 shown]
	global_load_dwordx4 v[211:214], v239, s[8:9]
	s_mov_b32 s50, s26
	s_mov_b32 s55, 0x3fe9895b
	;; [unrolled: 1-line block ×5, first 2 shown]
	s_waitcnt vmcnt(0) lgkmcnt(17)
	v_mul_f64 v[92:93], v[190:191], v[213:214]
	v_fma_f64 v[242:243], v[106:107], v[211:212], -v[92:93]
	v_mul_f64 v[92:93], v[106:107], v[213:214]
	v_fma_f64 v[190:191], v[190:191], v[211:212], v[92:93]
	s_waitcnt lgkmcnt(16)
	v_mul_f64 v[92:93], v[186:187], v[209:210]
	v_fma_f64 v[237:238], v[102:103], v[207:208], -v[92:93]
	v_mul_f64 v[92:93], v[102:103], v[209:210]
	s_waitcnt lgkmcnt(15)
	v_mul_f64 v[102:103], v[182:183], v[205:206]
	v_fma_f64 v[92:93], v[186:187], v[207:208], v[92:93]
	v_fma_f64 v[235:236], v[98:99], v[203:204], -v[102:103]
	v_mul_f64 v[98:99], v[98:99], v[205:206]
	v_fma_f64 v[102:103], v[182:183], v[203:204], v[98:99]
	s_waitcnt lgkmcnt(14)
	v_mul_f64 v[98:99], v[178:179], v[201:202]
	v_fma_f64 v[240:241], v[94:95], v[199:200], -v[98:99]
	v_mul_f64 v[94:95], v[94:95], v[201:202]
	v_fma_f64 v[98:99], v[178:179], v[199:200], v[94:95]
	s_clause 0x3
	global_load_dwordx4 v[214:217], v239, s[8:9] offset:112
	global_load_dwordx4 v[222:225], v239, s[8:9] offset:96
	;; [unrolled: 1-line block ×4, first 2 shown]
	s_waitcnt vmcnt(0) lgkmcnt(1)
	v_mul_f64 v[94:95], v[174:175], v[210:211]
	v_fma_f64 v[226:227], v[76:77], v[208:209], -v[94:95]
	v_mul_f64 v[76:77], v[76:77], v[210:211]
	v_fma_f64 v[76:77], v[174:175], v[208:209], v[76:77]
	buffer_store_dword v76, off, s[60:63], 0 offset:360 ; 4-byte Folded Spill
	buffer_store_dword v77, off, s[60:63], 0 offset:364 ; 4-byte Folded Spill
	s_waitcnt lgkmcnt(0)
	v_mul_f64 v[76:77], v[170:171], v[201:202]
	v_fma_f64 v[182:183], v[80:81], v[199:200], -v[76:77]
	v_mul_f64 v[76:77], v[80:81], v[201:202]
	v_fma_f64 v[220:221], v[170:171], v[199:200], v[76:77]
	v_mul_f64 v[76:77], v[166:167], v[224:225]
	v_fma_f64 v[106:107], v[72:73], v[222:223], -v[76:77]
	v_mul_f64 v[72:73], v[72:73], v[224:225]
	v_fma_f64 v[174:175], v[166:167], v[222:223], v[72:73]
	;; [unrolled: 4-line block ×3, first 2 shown]
	buffer_store_dword v68, off, s[60:63], 0 offset:344 ; 4-byte Folded Spill
	buffer_store_dword v69, off, s[60:63], 0 offset:348 ; 4-byte Folded Spill
	s_clause 0x3
	global_load_dwordx4 v[214:217], v239, s[8:9] offset:176
	global_load_dwordx4 v[222:225], v239, s[8:9] offset:160
	;; [unrolled: 1-line block ×4, first 2 shown]
	s_waitcnt vmcnt(0)
	v_mul_f64 v[68:69], v[158:159], v[201:202]
	v_fma_f64 v[80:81], v[64:65], v[199:200], -v[68:69]
	v_mul_f64 v[64:65], v[64:65], v[201:202]
	buffer_store_dword v80, off, s[60:63], 0 offset:184 ; 4-byte Folded Spill
	buffer_store_dword v81, off, s[60:63], 0 offset:188 ; 4-byte Folded Spill
	v_fma_f64 v[64:65], v[158:159], v[199:200], v[64:65]
	buffer_store_dword v64, off, s[60:63], 0 offset:352 ; 4-byte Folded Spill
	buffer_store_dword v65, off, s[60:63], 0 offset:356 ; 4-byte Folded Spill
	v_mul_f64 v[64:65], v[154:155], v[248:249]
	v_fma_f64 v[166:167], v[60:61], v[246:247], -v[64:65]
	v_mul_f64 v[60:61], v[60:61], v[248:249]
	buffer_store_dword v166, off, s[60:63], 0 offset:192 ; 4-byte Folded Spill
	buffer_store_dword v167, off, s[60:63], 0 offset:196 ; 4-byte Folded Spill
	v_fma_f64 v[158:159], v[154:155], v[246:247], v[60:61]
	v_mul_f64 v[60:61], v[150:151], v[224:225]
	v_fma_f64 v[170:171], v[56:57], v[222:223], -v[60:61]
	v_mul_f64 v[56:57], v[56:57], v[224:225]
	buffer_store_dword v170, off, s[60:63], 0 offset:248 ; 4-byte Folded Spill
	buffer_store_dword v171, off, s[60:63], 0 offset:252 ; 4-byte Folded Spill
	v_fma_f64 v[218:219], v[150:151], v[222:223], v[56:57]
	v_mul_f64 v[56:57], v[146:147], v[216:217]
	v_fma_f64 v[230:231], v[52:53], v[214:215], -v[56:57]
	v_mul_f64 v[52:53], v[52:53], v[216:217]
	v_fma_f64 v[52:53], v[146:147], v[214:215], v[52:53]
	buffer_store_dword v52, off, s[60:63], 0 offset:368 ; 4-byte Folded Spill
	buffer_store_dword v53, off, s[60:63], 0 offset:372 ; 4-byte Folded Spill
	s_clause 0x3
	global_load_dwordx4 v[199:202], v239, s[8:9] offset:240
	global_load_dwordx4 v[246:249], v239, s[8:9] offset:224
	global_load_dwordx4 v[203:206], v239, s[8:9] offset:208
	global_load_dwordx4 v[222:225], v239, s[8:9] offset:192
	s_waitcnt vmcnt(0)
	v_mul_f64 v[52:53], v[142:143], v[224:225]
	v_fma_f64 v[76:77], v[48:49], v[222:223], -v[52:53]
	v_mul_f64 v[48:49], v[48:49], v[224:225]
	v_fma_f64 v[216:217], v[142:143], v[222:223], v[48:49]
	v_mul_f64 v[48:49], v[138:139], v[205:206]
	v_fma_f64 v[222:223], v[44:45], v[203:204], -v[48:49]
	v_mul_f64 v[44:45], v[44:45], v[205:206]
	v_fma_f64 v[224:225], v[138:139], v[203:204], v[44:45]
	v_mul_f64 v[44:45], v[134:135], v[248:249]
	v_fma_f64 v[60:61], v[40:41], v[246:247], -v[44:45]
	v_mul_f64 v[40:41], v[40:41], v[248:249]
	buffer_store_dword v60, off, s[60:63], 0 offset:308 ; 4-byte Folded Spill
	buffer_store_dword v61, off, s[60:63], 0 offset:312 ; 4-byte Folded Spill
	v_fma_f64 v[248:249], v[134:135], v[246:247], v[40:41]
	v_mul_f64 v[40:41], v[130:131], v[201:202]
	v_fma_f64 v[245:246], v[36:37], v[199:200], -v[40:41]
	buffer_load_dword v40, off, s[60:63], 0 offset:4 ; 4-byte Folded Reload
	v_mul_f64 v[36:37], v[36:37], v[201:202]
	v_fma_f64 v[94:95], v[130:131], v[199:200], v[36:37]
	s_waitcnt vmcnt(0)
	v_and_b32_e32 v36, 0xff, v40
	v_mul_lo_u16 v36, v36, 37
	v_lshrrev_b16 v36, 8, v36
	v_sub_nc_u16 v37, v40, v36
	v_lshrrev_b16 v37, 1, v37
	v_and_b32_e32 v37, 0x7f, v37
	v_add_nc_u16 v36, v37, v36
	v_lshrrev_b16 v247, 2, v36
	v_mul_lo_u16 v36, v247, 7
	v_sub_nc_u16 v239, v40, v36
	v_lshlrev_b32_sdwa v215, v198, v239 dst_sel:DWORD dst_unused:UNUSED_PAD src0_sel:DWORD src1_sel:BYTE_0
	s_clause 0x3
	global_load_dwordx4 v[199:202], v215, s[8:9] offset:48
	global_load_dwordx4 v[203:206], v215, s[8:9] offset:32
	;; [unrolled: 1-line block ×3, first 2 shown]
	global_load_dwordx4 v[211:214], v215, s[8:9]
	s_waitcnt vmcnt(0)
	v_mul_f64 v[36:37], v[192:193], v[213:214]
	v_fma_f64 v[162:163], v[108:109], v[211:212], -v[36:37]
	v_mul_f64 v[36:37], v[108:109], v[213:214]
	v_fma_f64 v[178:179], v[192:193], v[211:212], v[36:37]
	v_mul_f64 v[36:37], v[188:189], v[209:210]
	v_fma_f64 v[150:151], v[104:105], v[207:208], -v[36:37]
	v_mul_f64 v[36:37], v[104:105], v[209:210]
	v_fma_f64 v[154:155], v[188:189], v[207:208], v[36:37]
	;; [unrolled: 4-line block ×4, first 2 shown]
	s_clause 0x3
	global_load_dwordx4 v[199:202], v215, s[8:9] offset:112
	global_load_dwordx4 v[203:206], v215, s[8:9] offset:96
	;; [unrolled: 1-line block ×4, first 2 shown]
	s_waitcnt vmcnt(3)
	v_mul_f64 v[40:41], v[70:71], v[201:202]
	s_waitcnt vmcnt(0)
	v_mul_f64 v[36:37], v[176:177], v[213:214]
	v_fma_f64 v[40:41], v[164:165], v[199:200], v[40:41]
	v_fma_f64 v[52:53], v[78:79], v[211:212], -v[36:37]
	v_mul_f64 v[36:37], v[78:79], v[213:214]
	v_fma_f64 v[176:177], v[176:177], v[211:212], v[36:37]
	v_mul_f64 v[36:37], v[172:173], v[209:210]
	v_fma_f64 v[142:143], v[82:83], v[207:208], -v[36:37]
	v_mul_f64 v[36:37], v[82:83], v[209:210]
	v_fma_f64 v[146:147], v[172:173], v[207:208], v[36:37]
	v_mul_f64 v[36:37], v[168:169], v[205:206]
	;; [unrolled: 4-line block ×3, first 2 shown]
	v_fma_f64 v[48:49], v[70:71], v[199:200], -v[36:37]
	s_clause 0x3
	global_load_dwordx4 v[68:71], v215, s[8:9] offset:176
	global_load_dwordx4 v[72:75], v215, s[8:9] offset:160
	;; [unrolled: 1-line block ×4, first 2 shown]
	s_waitcnt vmcnt(0)
	v_mul_f64 v[64:65], v[160:161], v[205:206]
	v_fma_f64 v[164:165], v[66:67], v[203:204], -v[64:65]
	v_mul_f64 v[64:65], v[66:67], v[205:206]
	v_add_f64 v[212:213], v[48:49], v[164:165]
	v_fma_f64 v[160:161], v[160:161], v[203:204], v[64:65]
	v_mul_f64 v[64:65], v[156:157], v[201:202]
	v_fma_f64 v[168:169], v[62:63], v[199:200], -v[64:65]
	v_mul_f64 v[62:63], v[62:63], v[201:202]
	v_fma_f64 v[156:157], v[156:157], v[199:200], v[62:63]
	v_mul_f64 v[62:63], v[152:153], v[74:75]
	v_fma_f64 v[172:173], v[58:59], v[72:73], -v[62:63]
	v_mul_f64 v[58:59], v[58:59], v[74:75]
	v_mul_f64 v[62:63], v[148:149], v[70:71]
	v_fma_f64 v[36:37], v[152:153], v[72:73], v[58:59]
	v_fma_f64 v[152:153], v[54:55], v[68:69], -v[62:63]
	v_mul_f64 v[54:55], v[54:55], v[70:71]
	v_fma_f64 v[54:55], v[148:149], v[68:69], v[54:55]
	s_clause 0x3
	global_load_dwordx4 v[62:65], v215, s[8:9] offset:240
	global_load_dwordx4 v[66:69], v215, s[8:9] offset:224
	;; [unrolled: 1-line block ×4, first 2 shown]
	buffer_load_dword v58, off, s[60:63], 0 offset:16 ; 4-byte Folded Reload
	v_add_f64 v[214:215], v[40:41], -v[160:161]
	s_waitcnt vmcnt(1)
	v_mul_f64 v[74:75], v[144:145], v[201:202]
	v_fma_f64 v[148:149], v[50:51], v[199:200], -v[74:75]
	v_mul_f64 v[50:51], v[50:51], v[201:202]
	v_mul_f64 v[74:75], v[140:141], v[72:73]
	v_fma_f64 v[50:51], v[144:145], v[199:200], v[50:51]
	v_fma_f64 v[144:145], v[46:47], v[70:71], -v[74:75]
	v_mul_f64 v[46:47], v[46:47], v[72:73]
	v_fma_f64 v[46:47], v[140:141], v[70:71], v[46:47]
	v_mul_f64 v[70:71], v[136:137], v[68:69]
	v_fma_f64 v[140:141], v[42:43], v[66:67], -v[70:71]
	v_mul_f64 v[42:43], v[42:43], v[68:69]
	v_fma_f64 v[42:43], v[136:137], v[66:67], v[42:43]
	v_mul_f64 v[66:67], v[132:133], v[64:65]
	v_fma_f64 v[136:137], v[38:39], v[62:63], -v[66:67]
	v_mul_f64 v[38:39], v[38:39], v[64:65]
	v_fma_f64 v[38:39], v[132:133], v[62:63], v[38:39]
	s_waitcnt vmcnt(0)
	v_and_b32_e32 v62, 0xff, v58
	v_mul_lo_u16 v62, v62, 37
	v_lshrrev_b16 v62, 8, v62
	v_sub_nc_u16 v63, v58, v62
	v_lshrrev_b16 v63, 1, v63
	v_and_b32_e32 v63, 0x7f, v63
	v_add_nc_u16 v62, v63, v62
	v_lshrrev_b16 v62, 2, v62
	v_mul_lo_u16 v62, v62, 7
	v_sub_nc_u16 v58, v58, v62
	v_lshlrev_b32_sdwa v78, v198, v58 dst_sel:DWORD dst_unused:UNUSED_PAD src0_sel:DWORD src1_sel:BYTE_0
	buffer_store_dword v58, off, s[60:63], 0 offset:340 ; 4-byte Folded Spill
	s_clause 0x3
	global_load_dwordx4 v[62:65], v78, s[8:9] offset:48
	global_load_dwordx4 v[66:69], v78, s[8:9] offset:32
	;; [unrolled: 1-line block ×3, first 2 shown]
	global_load_dwordx4 v[198:201], v78, s[8:9]
	s_waitcnt vmcnt(0)
	v_mul_f64 v[74:75], v[2:3], v[200:201]
	v_fma_f64 v[96:97], v[6:7], v[198:199], -v[74:75]
	v_mul_f64 v[6:7], v[6:7], v[200:201]
	v_fma_f64 v[210:211], v[2:3], v[198:199], v[6:7]
	v_mul_f64 v[2:3], v[126:127], v[72:73]
	v_add_f64 v[198:199], v[154:155], -v[42:43]
	v_fma_f64 v[2:3], v[32:33], v[70:71], -v[2:3]
	buffer_store_dword v2, off, s[60:63], 0 offset:332 ; 4-byte Folded Spill
	buffer_store_dword v3, off, s[60:63], 0 offset:336 ; 4-byte Folded Spill
	v_mul_f64 v[2:3], v[32:33], v[72:73]
	v_mul_f64 v[200:201], v[198:199], s[26:27]
	v_fma_f64 v[2:3], v[126:127], v[70:71], v[2:3]
	buffer_store_dword v2, off, s[60:63], 0 offset:80 ; 4-byte Folded Spill
	buffer_store_dword v3, off, s[60:63], 0 offset:84 ; 4-byte Folded Spill
	v_mul_f64 v[2:3], v[128:129], v[68:69]
	v_fma_f64 v[104:105], v[34:35], v[66:67], -v[2:3]
	v_mul_f64 v[2:3], v[34:35], v[68:69]
	v_fma_f64 v[2:3], v[128:129], v[66:67], v[2:3]
	buffer_store_dword v2, off, s[60:63], 0 offset:64 ; 4-byte Folded Spill
	buffer_store_dword v3, off, s[60:63], 0 offset:68 ; 4-byte Folded Spill
	v_mul_f64 v[2:3], v[122:123], v[64:65]
	v_fma_f64 v[2:3], v[28:29], v[62:63], -v[2:3]
	buffer_store_dword v2, off, s[60:63], 0 offset:88 ; 4-byte Folded Spill
	buffer_store_dword v3, off, s[60:63], 0 offset:92 ; 4-byte Folded Spill
	v_mul_f64 v[2:3], v[28:29], v[64:65]
	v_fma_f64 v[2:3], v[122:123], v[62:63], v[2:3]
	buffer_store_dword v2, off, s[60:63], 0 offset:56 ; 4-byte Folded Spill
	buffer_store_dword v3, off, s[60:63], 0 offset:60 ; 4-byte Folded Spill
	s_clause 0x3
	global_load_dwordx4 v[32:35], v78, s[8:9] offset:112
	global_load_dwordx4 v[62:65], v78, s[8:9] offset:96
	;; [unrolled: 1-line block ×4, first 2 shown]
	s_waitcnt vmcnt(0)
	v_mul_f64 v[2:3], v[124:125], v[72:73]
	v_fma_f64 v[122:123], v[30:31], v[70:71], -v[2:3]
	v_mul_f64 v[2:3], v[30:31], v[72:73]
	v_fma_f64 v[2:3], v[124:125], v[70:71], v[2:3]
	buffer_store_dword v2, off, s[60:63], 0 offset:72 ; 4-byte Folded Spill
	buffer_store_dword v3, off, s[60:63], 0 offset:76 ; 4-byte Folded Spill
	v_mul_f64 v[2:3], v[118:119], v[68:69]
	v_fma_f64 v[2:3], v[24:25], v[66:67], -v[2:3]
	buffer_store_dword v2, off, s[60:63], 0 offset:104 ; 4-byte Folded Spill
	buffer_store_dword v3, off, s[60:63], 0 offset:108 ; 4-byte Folded Spill
	v_mul_f64 v[2:3], v[24:25], v[68:69]
	v_fma_f64 v[118:119], v[118:119], v[66:67], v[2:3]
	v_mul_f64 v[2:3], v[120:121], v[64:65]
	v_fma_f64 v[2:3], v[26:27], v[62:63], -v[2:3]
	buffer_store_dword v2, off, s[60:63], 0 offset:120 ; 4-byte Folded Spill
	buffer_store_dword v3, off, s[60:63], 0 offset:124 ; 4-byte Folded Spill
	v_mul_f64 v[2:3], v[26:27], v[64:65]
	v_fma_f64 v[2:3], v[120:121], v[62:63], v[2:3]
	buffer_store_dword v2, off, s[60:63], 0 offset:96 ; 4-byte Folded Spill
	buffer_store_dword v3, off, s[60:63], 0 offset:100 ; 4-byte Folded Spill
	v_mul_f64 v[2:3], v[114:115], v[34:35]
	v_fma_f64 v[2:3], v[20:21], v[32:33], -v[2:3]
	buffer_store_dword v2, off, s[60:63], 0 offset:40 ; 4-byte Folded Spill
	buffer_store_dword v3, off, s[60:63], 0 offset:44 ; 4-byte Folded Spill
	v_mul_f64 v[2:3], v[20:21], v[34:35]
	v_fma_f64 v[2:3], v[114:115], v[32:33], v[2:3]
	buffer_store_dword v2, off, s[60:63], 0 offset:32 ; 4-byte Folded Spill
	buffer_store_dword v3, off, s[60:63], 0 offset:36 ; 4-byte Folded Spill
	s_clause 0x3
	global_load_dwordx4 v[24:27], v78, s[8:9] offset:176
	global_load_dwordx4 v[28:31], v78, s[8:9] offset:160
	;; [unrolled: 1-line block ×4, first 2 shown]
	s_waitcnt vmcnt(0)
	v_mul_f64 v[2:3], v[116:117], v[64:65]
	v_fma_f64 v[2:3], v[22:23], v[62:63], -v[2:3]
	buffer_store_dword v2, off, s[60:63], 0 offset:48 ; 4-byte Folded Spill
	buffer_store_dword v3, off, s[60:63], 0 offset:52 ; 4-byte Folded Spill
	v_mul_f64 v[2:3], v[22:23], v[64:65]
	v_fma_f64 v[108:109], v[116:117], v[62:63], v[2:3]
	v_mul_f64 v[2:3], v[110:111], v[34:35]
	v_fma_f64 v[120:121], v[16:17], v[32:33], -v[2:3]
	v_mul_f64 v[2:3], v[16:17], v[34:35]
	v_fma_f64 v[116:117], v[110:111], v[32:33], v[2:3]
	v_mul_f64 v[2:3], v[112:113], v[30:31]
	v_fma_f64 v[110:111], v[18:19], v[28:29], -v[2:3]
	v_mul_f64 v[2:3], v[18:19], v[30:31]
	v_fma_f64 v[2:3], v[112:113], v[28:29], v[2:3]
	buffer_store_dword v2, off, s[60:63], 0 offset:144 ; 4-byte Folded Spill
	buffer_store_dword v3, off, s[60:63], 0 offset:148 ; 4-byte Folded Spill
	v_mul_f64 v[2:3], v[88:89], v[26:27]
	v_fma_f64 v[112:113], v[12:13], v[24:25], -v[2:3]
	v_mul_f64 v[2:3], v[12:13], v[26:27]
	v_fma_f64 v[2:3], v[88:89], v[24:25], v[2:3]
	buffer_store_dword v2, off, s[60:63], 0 offset:128 ; 4-byte Folded Spill
	buffer_store_dword v3, off, s[60:63], 0 offset:132 ; 4-byte Folded Spill
	s_clause 0x3
	global_load_dwordx4 v[16:19], v78, s[8:9] offset:240
	global_load_dwordx4 v[20:23], v78, s[8:9] offset:224
	global_load_dwordx4 v[24:27], v78, s[8:9] offset:208
	global_load_dwordx4 v[28:31], v78, s[8:9] offset:192
	v_and_b32_e32 v78, 0xffff, v197
	v_mov_b32_e32 v197, 3
	v_mad_u32_u24 v78, 0x3b8, v78, 0
	v_lshlrev_b32_sdwa v79, v197, v196 dst_sel:DWORD dst_unused:UNUSED_PAD src0_sel:DWORD src1_sel:BYTE_0
	s_waitcnt vmcnt(0)
	v_mul_f64 v[2:3], v[90:91], v[30:31]
	v_fma_f64 v[2:3], v[14:15], v[28:29], -v[2:3]
	buffer_store_dword v2, off, s[60:63], 0 offset:152 ; 4-byte Folded Spill
	buffer_store_dword v3, off, s[60:63], 0 offset:156 ; 4-byte Folded Spill
	v_mul_f64 v[2:3], v[14:15], v[30:31]
	v_fma_f64 v[2:3], v[90:91], v[28:29], v[2:3]
	buffer_store_dword v2, off, s[60:63], 0 offset:136 ; 4-byte Folded Spill
	buffer_store_dword v3, off, s[60:63], 0 offset:140 ; 4-byte Folded Spill
	v_mul_f64 v[2:3], v[84:85], v[26:27]
	v_fma_f64 v[90:91], v[8:9], v[24:25], -v[2:3]
	v_mul_f64 v[2:3], v[8:9], v[26:27]
	v_fma_f64 v[2:3], v[84:85], v[24:25], v[2:3]
	buffer_store_dword v2, off, s[60:63], 0 offset:112 ; 4-byte Folded Spill
	buffer_store_dword v3, off, s[60:63], 0 offset:116 ; 4-byte Folded Spill
	v_mul_f64 v[2:3], v[86:87], v[22:23]
	v_fma_f64 v[2:3], v[10:11], v[20:21], -v[2:3]
	buffer_store_dword v2, off, s[60:63], 0 offset:160 ; 4-byte Folded Spill
	buffer_store_dword v3, off, s[60:63], 0 offset:164 ; 4-byte Folded Spill
	v_mul_f64 v[2:3], v[10:11], v[22:23]
	v_fma_f64 v[114:115], v[86:87], v[20:21], v[2:3]
	v_mul_f64 v[2:3], v[232:233], v[18:19]
	v_fma_f64 v[86:87], v[254:255], v[16:17], -v[2:3]
	v_mul_f64 v[2:3], v[254:255], v[18:19]
	v_fma_f64 v[84:85], v[232:233], v[16:17], v[2:3]
	v_add_f64 v[2:3], v[252:253], v[242:243]
	v_add_f64 v[2:3], v[2:3], v[237:238]
	;; [unrolled: 1-line block ×16, first 2 shown]
	buffer_store_dword v242, off, s[60:63], 0 offset:316 ; 4-byte Folded Spill
	buffer_store_dword v243, off, s[60:63], 0 offset:320 ; 4-byte Folded Spill
	buffer_store_dword v245, off, s[60:63], 0 offset:324 ; 4-byte Folded Spill
	buffer_store_dword v246, off, s[60:63], 0 offset:328 ; 4-byte Folded Spill
	buffer_store_dword v237, off, s[60:63], 0 offset:300 ; 4-byte Folded Spill
	buffer_store_dword v238, off, s[60:63], 0 offset:304 ; 4-byte Folded Spill
	buffer_store_dword v235, off, s[60:63], 0 offset:280 ; 4-byte Folded Spill
	buffer_store_dword v236, off, s[60:63], 0 offset:284 ; 4-byte Folded Spill
	buffer_store_dword v222, off, s[60:63], 0 offset:292 ; 4-byte Folded Spill
	buffer_store_dword v223, off, s[60:63], 0 offset:296 ; 4-byte Folded Spill
	buffer_store_dword v240, off, s[60:63], 0 offset:272 ; 4-byte Folded Spill
	buffer_store_dword v241, off, s[60:63], 0 offset:276 ; 4-byte Folded Spill
	buffer_store_dword v226, off, s[60:63], 0 offset:264 ; 4-byte Folded Spill
	buffer_store_dword v227, off, s[60:63], 0 offset:268 ; 4-byte Folded Spill
	v_add_f64 v[2:3], v[242:243], v[245:246]
	v_mov_b32_e32 v242, v248
	v_mov_b32_e32 v246, v95
	;; [unrolled: 1-line block ×6, first 2 shown]
	v_add_f64 v[66:67], v[92:93], -v[242:243]
	v_add_f64 v[6:7], v[248:249], -v[245:246]
	v_mul_f64 v[68:69], v[66:67], s[26:27]
	v_mul_f64 v[8:9], v[6:7], s[6:7]
	;; [unrolled: 1-line block ×9, first 2 shown]
	v_fma_f64 v[12:13], v[2:3], s[4:5], -v[8:9]
	v_fma_f64 v[8:9], v[2:3], s[4:5], v[8:9]
	v_fma_f64 v[16:17], v[2:3], s[14:15], -v[14:15]
	v_fma_f64 v[14:15], v[2:3], s[14:15], v[14:15]
	;; [unrolled: 2-line block ×8, first 2 shown]
	v_add_f64 v[6:7], v[237:238], v[60:61]
	v_mov_b32_e32 v238, v93
	v_mov_b32_e32 v237, v92
	v_add_f64 v[12:13], v[252:253], v[12:13]
	v_add_f64 v[8:9], v[252:253], v[8:9]
	;; [unrolled: 1-line block ×16, first 2 shown]
	v_fma_f64 v[70:71], v[6:7], s[14:15], -v[68:69]
	v_fma_f64 v[68:69], v[6:7], s[14:15], v[68:69]
	v_add_f64 v[12:13], v[70:71], v[12:13]
	v_add_f64 v[8:9], v[68:69], v[8:9]
	v_mul_f64 v[68:69], v[66:67], s[38:39]
	v_fma_f64 v[70:71], v[6:7], s[16:17], -v[68:69]
	v_fma_f64 v[68:69], v[6:7], s[16:17], v[68:69]
	v_add_f64 v[16:17], v[70:71], v[16:17]
	v_add_f64 v[14:15], v[68:69], v[14:15]
	v_mul_f64 v[68:69], v[66:67], s[24:25]
	;; [unrolled: 5-line block ×6, first 2 shown]
	v_mul_f64 v[66:67], v[66:67], s[44:45]
	v_fma_f64 v[70:71], v[6:7], s[10:11], -v[68:69]
	v_fma_f64 v[68:69], v[6:7], s[10:11], v[68:69]
	v_add_f64 v[62:63], v[70:71], v[62:63]
	v_add_f64 v[34:35], v[68:69], v[34:35]
	v_fma_f64 v[68:69], v[6:7], s[4:5], -v[66:67]
	v_fma_f64 v[6:7], v[6:7], s[4:5], v[66:67]
	v_add_f64 v[64:65], v[68:69], v[64:65]
	v_add_f64 v[2:3], v[6:7], v[2:3]
	;; [unrolled: 1-line block ×3, first 2 shown]
	v_mov_b32_e32 v223, v103
	v_mov_b32_e32 v222, v102
	v_add_f64 v[66:67], v[222:223], -v[224:225]
	v_mul_f64 v[68:69], v[66:67], s[40:41]
	v_fma_f64 v[70:71], v[6:7], s[10:11], -v[68:69]
	v_fma_f64 v[68:69], v[6:7], s[10:11], v[68:69]
	v_add_f64 v[12:13], v[70:71], v[12:13]
	v_add_f64 v[8:9], v[68:69], v[8:9]
	v_mul_f64 v[68:69], v[66:67], s[24:25]
	v_fma_f64 v[70:71], v[6:7], s[22:23], -v[68:69]
	v_fma_f64 v[68:69], v[6:7], s[22:23], v[68:69]
	v_add_f64 v[16:17], v[70:71], v[16:17]
	v_add_f64 v[14:15], v[68:69], v[14:15]
	;; [unrolled: 5-line block ×6, first 2 shown]
	v_mul_f64 v[68:69], v[66:67], s[38:39]
	v_mul_f64 v[66:67], v[66:67], s[30:31]
	v_fma_f64 v[70:71], v[6:7], s[16:17], -v[68:69]
	v_fma_f64 v[68:69], v[6:7], s[16:17], v[68:69]
	v_add_f64 v[62:63], v[70:71], v[62:63]
	v_add_f64 v[34:35], v[68:69], v[34:35]
	v_fma_f64 v[68:69], v[6:7], s[28:29], -v[66:67]
	v_fma_f64 v[6:7], v[6:7], s[28:29], v[66:67]
	v_add_f64 v[64:65], v[68:69], v[64:65]
	v_add_f64 v[2:3], v[6:7], v[2:3]
	v_add_f64 v[6:7], v[240:241], v[76:77]
	v_mov_b32_e32 v241, v77
	v_mov_b32_e32 v240, v76
	;; [unrolled: 1-line block ×4, first 2 shown]
	v_add_f64 v[66:67], v[76:77], -v[216:217]
	v_mul_f64 v[68:69], v[66:67], s[38:39]
	v_fma_f64 v[70:71], v[6:7], s[16:17], -v[68:69]
	v_fma_f64 v[68:69], v[6:7], s[16:17], v[68:69]
	v_add_f64 v[12:13], v[70:71], v[12:13]
	v_add_f64 v[8:9], v[68:69], v[8:9]
	v_mul_f64 v[68:69], v[66:67], s[36:37]
	v_fma_f64 v[70:71], v[6:7], s[34:35], -v[68:69]
	v_fma_f64 v[68:69], v[6:7], s[34:35], v[68:69]
	v_add_f64 v[16:17], v[70:71], v[16:17]
	v_add_f64 v[14:15], v[68:69], v[14:15]
	;; [unrolled: 5-line block ×6, first 2 shown]
	v_mul_f64 v[68:69], v[66:67], s[54:55]
	v_mul_f64 v[66:67], v[66:67], s[50:51]
	v_fma_f64 v[70:71], v[6:7], s[22:23], -v[68:69]
	v_fma_f64 v[68:69], v[6:7], s[22:23], v[68:69]
	v_add_f64 v[62:63], v[70:71], v[62:63]
	v_add_f64 v[34:35], v[68:69], v[34:35]
	v_fma_f64 v[68:69], v[6:7], s[14:15], -v[66:67]
	v_fma_f64 v[6:7], v[6:7], s[14:15], v[66:67]
	v_add_f64 v[64:65], v[68:69], v[64:65]
	v_add_f64 v[2:3], v[6:7], v[2:3]
	;; [unrolled: 1-line block ×3, first 2 shown]
	v_mov_b32_e32 v226, v230
	v_mov_b32_e32 v227, v231
	s_clause 0x3
	buffer_load_dword v230, off, s[60:63], 0 offset:360
	buffer_load_dword v231, off, s[60:63], 0 offset:364
	;; [unrolled: 1-line block ×4, first 2 shown]
	buffer_store_dword v182, off, s[60:63], 0 offset:232 ; 4-byte Folded Spill
	buffer_store_dword v183, off, s[60:63], 0 offset:236 ; 4-byte Folded Spill
	;; [unrolled: 1-line block ×10, first 2 shown]
	s_clause 0x3
	buffer_load_dword v190, off, s[60:63], 0 offset:344
	buffer_load_dword v191, off, s[60:63], 0 offset:348
	;; [unrolled: 1-line block ×4, first 2 shown]
	s_waitcnt vmcnt(4)
	v_add_f64 v[66:67], v[230:231], -v[92:93]
	s_waitcnt vmcnt(0)
	v_add_f64 v[126:127], v[190:191], -v[98:99]
	v_mul_f64 v[68:69], v[66:67], s[20:21]
	v_fma_f64 v[70:71], v[6:7], s[18:19], -v[68:69]
	v_fma_f64 v[68:69], v[6:7], s[18:19], v[68:69]
	v_add_f64 v[12:13], v[70:71], v[12:13]
	v_add_f64 v[8:9], v[68:69], v[8:9]
	v_mul_f64 v[68:69], v[66:67], s[48:49]
	v_fma_f64 v[70:71], v[6:7], s[28:29], -v[68:69]
	v_fma_f64 v[68:69], v[6:7], s[28:29], v[68:69]
	v_add_f64 v[16:17], v[70:71], v[16:17]
	v_add_f64 v[14:15], v[68:69], v[14:15]
	;; [unrolled: 5-line block ×6, first 2 shown]
	v_mul_f64 v[68:69], v[66:67], s[6:7]
	v_mul_f64 v[66:67], v[66:67], s[24:25]
	v_fma_f64 v[70:71], v[6:7], s[4:5], -v[68:69]
	v_fma_f64 v[68:69], v[6:7], s[4:5], v[68:69]
	v_add_f64 v[62:63], v[70:71], v[62:63]
	v_add_f64 v[34:35], v[68:69], v[34:35]
	v_fma_f64 v[68:69], v[6:7], s[22:23], -v[66:67]
	v_fma_f64 v[6:7], v[6:7], s[22:23], v[66:67]
	v_add_f64 v[66:67], v[220:221], -v[218:219]
	v_add_f64 v[64:65], v[68:69], v[64:65]
	v_add_f64 v[2:3], v[6:7], v[2:3]
	;; [unrolled: 1-line block ×3, first 2 shown]
	v_mul_f64 v[68:69], v[66:67], s[24:25]
	v_mov_b32_e32 v182, v220
	v_mov_b32_e32 v183, v221
	v_fma_f64 v[70:71], v[6:7], s[22:23], -v[68:69]
	v_fma_f64 v[68:69], v[6:7], s[22:23], v[68:69]
	v_add_f64 v[12:13], v[70:71], v[12:13]
	v_add_f64 v[8:9], v[68:69], v[8:9]
	v_mul_f64 v[68:69], v[66:67], s[46:47]
	v_fma_f64 v[70:71], v[6:7], s[18:19], -v[68:69]
	v_fma_f64 v[68:69], v[6:7], s[18:19], v[68:69]
	v_add_f64 v[16:17], v[70:71], v[16:17]
	v_add_f64 v[14:15], v[68:69], v[14:15]
	v_mul_f64 v[68:69], v[66:67], s[6:7]
	v_fma_f64 v[70:71], v[6:7], s[4:5], -v[68:69]
	v_fma_f64 v[68:69], v[6:7], s[4:5], v[68:69]
	v_add_f64 v[20:21], v[70:71], v[20:21]
	v_add_f64 v[18:19], v[68:69], v[18:19]
	v_mul_f64 v[68:69], v[66:67], s[30:31]
	v_fma_f64 v[70:71], v[6:7], s[28:29], -v[68:69]
	v_fma_f64 v[68:69], v[6:7], s[28:29], v[68:69]
	v_add_f64 v[24:25], v[70:71], v[24:25]
	v_add_f64 v[22:23], v[68:69], v[22:23]
	v_mul_f64 v[68:69], v[66:67], s[56:57]
	v_fma_f64 v[70:71], v[6:7], s[16:17], -v[68:69]
	v_fma_f64 v[68:69], v[6:7], s[16:17], v[68:69]
	v_add_f64 v[28:29], v[70:71], v[28:29]
	v_add_f64 v[26:27], v[68:69], v[26:27]
	v_mul_f64 v[68:69], v[66:67], s[26:27]
	v_fma_f64 v[70:71], v[6:7], s[14:15], -v[68:69]
	v_fma_f64 v[68:69], v[6:7], s[14:15], v[68:69]
	v_add_f64 v[32:33], v[70:71], v[32:33]
	v_add_f64 v[30:31], v[68:69], v[30:31]
	v_mul_f64 v[68:69], v[66:67], s[36:37]
	v_mul_f64 v[66:67], v[66:67], s[42:43]
	v_fma_f64 v[70:71], v[6:7], s[34:35], -v[68:69]
	v_fma_f64 v[68:69], v[6:7], s[34:35], v[68:69]
	v_add_f64 v[62:63], v[70:71], v[62:63]
	v_add_f64 v[34:35], v[68:69], v[34:35]
	v_fma_f64 v[68:69], v[6:7], s[10:11], -v[66:67]
	v_fma_f64 v[6:7], v[6:7], s[10:11], v[66:67]
	v_add_f64 v[66:67], v[174:175], -v[158:159]
	v_add_f64 v[64:65], v[68:69], v[64:65]
	v_add_f64 v[2:3], v[6:7], v[2:3]
	;; [unrolled: 1-line block ×3, first 2 shown]
	v_mul_f64 v[68:69], v[66:67], s[30:31]
	v_fma_f64 v[70:71], v[6:7], s[28:29], -v[68:69]
	v_fma_f64 v[68:69], v[6:7], s[28:29], v[68:69]
	v_add_f64 v[12:13], v[70:71], v[12:13]
	v_add_f64 v[8:9], v[68:69], v[8:9]
	v_mul_f64 v[68:69], v[66:67], s[42:43]
	v_fma_f64 v[70:71], v[6:7], s[10:11], -v[68:69]
	v_fma_f64 v[68:69], v[6:7], s[10:11], v[68:69]
	v_add_f64 v[16:17], v[70:71], v[16:17]
	v_add_f64 v[14:15], v[68:69], v[14:15]
	;; [unrolled: 5-line block ×6, first 2 shown]
	v_mul_f64 v[68:69], v[66:67], s[50:51]
	v_fma_f64 v[70:71], v[6:7], s[14:15], -v[68:69]
	v_add_f64 v[82:83], v[70:71], v[62:63]
	v_fma_f64 v[62:63], v[6:7], s[14:15], v[68:69]
	v_add_f64 v[34:35], v[62:63], v[34:35]
	v_mul_f64 v[62:63], v[66:67], s[20:21]
	v_fma_f64 v[66:67], v[6:7], s[18:19], -v[62:63]
	v_fma_f64 v[6:7], v[6:7], s[18:19], v[62:63]
	v_mul_f64 v[62:63], v[126:127], s[36:37]
	v_add_f64 v[124:125], v[66:67], v[64:65]
	v_add_f64 v[2:3], v[6:7], v[2:3]
	;; [unrolled: 1-line block ×3, first 2 shown]
	v_fma_f64 v[64:65], v[6:7], s[34:35], -v[62:63]
	v_add_f64 v[70:71], v[64:65], v[12:13]
	v_fma_f64 v[12:13], v[6:7], s[34:35], v[62:63]
	v_add_f64 v[128:129], v[12:13], v[8:9]
	v_mul_f64 v[8:9], v[126:127], s[44:45]
	v_fma_f64 v[12:13], v[6:7], s[4:5], -v[8:9]
	v_fma_f64 v[8:9], v[6:7], s[4:5], v[8:9]
	v_add_f64 v[72:73], v[12:13], v[16:17]
	v_add_f64 v[132:133], v[8:9], v[14:15]
	v_mul_f64 v[8:9], v[126:127], s[30:31]
	v_fma_f64 v[12:13], v[6:7], s[28:29], -v[8:9]
	v_fma_f64 v[8:9], v[6:7], s[28:29], v[8:9]
	v_add_f64 v[74:75], v[12:13], v[20:21]
	;; [unrolled: 5-line block ×7, first 2 shown]
	v_add_f64 v[232:233], v[6:7], v[2:3]
	v_add_f64 v[2:3], v[250:251], v[162:163]
	buffer_store_dword v162, off, s[60:63], 0 offset:208 ; 4-byte Folded Spill
	buffer_store_dword v163, off, s[60:63], 0 offset:212 ; 4-byte Folded Spill
	buffer_store_dword v178, off, s[60:63], 0 offset:240 ; 4-byte Folded Spill
	buffer_store_dword v179, off, s[60:63], 0 offset:244 ; 4-byte Folded Spill
	v_add_f64 v[2:3], v[2:3], v[150:151]
	v_add_f64 v[2:3], v[2:3], v[130:131]
	v_add_f64 v[2:3], v[2:3], v[44:45]
	v_add_f64 v[2:3], v[2:3], v[52:53]
	buffer_store_dword v52, off, s[60:63], 0 offset:200 ; 4-byte Folded Spill
	buffer_store_dword v53, off, s[60:63], 0 offset:204 ; 4-byte Folded Spill
	;; [unrolled: 1-line block ×4, first 2 shown]
	s_waitcnt_vscnt null, 0x0
	s_barrier
	buffer_gl0_inv
	buffer_load_dword v220, off, s[60:63], 0 offset:288 ; 4-byte Folded Reload
	v_add_f64 v[2:3], v[2:3], v[142:143]
	v_add_f64 v[2:3], v[2:3], v[100:101]
	;; [unrolled: 1-line block ×10, first 2 shown]
	v_add_f64 v[6:7], v[178:179], -v[38:39]
	v_add_f64 v[24:25], v[2:3], v[136:137]
	v_add_f64 v[2:3], v[162:163], v[136:137]
	v_mul_f64 v[8:9], v[6:7], s[6:7]
	v_mul_f64 v[14:15], v[6:7], s[26:27]
	;; [unrolled: 1-line block ×8, first 2 shown]
	v_fma_f64 v[12:13], v[2:3], s[4:5], -v[8:9]
	v_fma_f64 v[8:9], v[2:3], s[4:5], v[8:9]
	v_fma_f64 v[16:17], v[2:3], s[14:15], -v[14:15]
	v_fma_f64 v[14:15], v[2:3], s[14:15], v[14:15]
	;; [unrolled: 2-line block ×8, first 2 shown]
	v_add_f64 v[6:7], v[150:151], v[140:141]
	v_add_f64 v[12:13], v[250:251], v[12:13]
	;; [unrolled: 1-line block ×17, first 2 shown]
	v_fma_f64 v[202:203], v[6:7], s[14:15], -v[200:201]
	v_fma_f64 v[200:201], v[6:7], s[14:15], v[200:201]
	v_add_f64 v[12:13], v[202:203], v[12:13]
	v_add_f64 v[8:9], v[200:201], v[8:9]
	v_mul_f64 v[200:201], v[198:199], s[38:39]
	v_fma_f64 v[202:203], v[6:7], s[16:17], -v[200:201]
	v_fma_f64 v[200:201], v[6:7], s[16:17], v[200:201]
	v_add_f64 v[16:17], v[202:203], v[16:17]
	v_add_f64 v[14:15], v[200:201], v[14:15]
	v_mul_f64 v[200:201], v[198:199], s[24:25]
	v_fma_f64 v[202:203], v[6:7], s[22:23], -v[200:201]
	v_fma_f64 v[200:201], v[6:7], s[22:23], v[200:201]
	v_add_f64 v[20:21], v[202:203], v[20:21]
	v_add_f64 v[18:19], v[200:201], v[18:19]
	v_mul_f64 v[200:201], v[198:199], s[36:37]
	v_fma_f64 v[202:203], v[6:7], s[34:35], -v[200:201]
	v_fma_f64 v[200:201], v[6:7], s[34:35], v[200:201]
	v_add_f64 v[26:27], v[202:203], v[26:27]
	v_add_f64 v[22:23], v[200:201], v[22:23]
	v_mul_f64 v[200:201], v[198:199], s[48:49]
	v_fma_f64 v[202:203], v[6:7], s[28:29], -v[200:201]
	v_fma_f64 v[200:201], v[6:7], s[28:29], v[200:201]
	v_add_f64 v[30:31], v[202:203], v[30:31]
	v_add_f64 v[28:29], v[200:201], v[28:29]
	v_mul_f64 v[200:201], v[198:199], s[46:47]
	v_fma_f64 v[202:203], v[6:7], s[18:19], -v[200:201]
	v_fma_f64 v[200:201], v[6:7], s[18:19], v[200:201]
	v_add_f64 v[34:35], v[202:203], v[34:35]
	v_add_f64 v[32:33], v[200:201], v[32:33]
	v_mul_f64 v[200:201], v[198:199], s[42:43]
	v_mul_f64 v[198:199], v[198:199], s[44:45]
	v_fma_f64 v[202:203], v[6:7], s[10:11], -v[200:201]
	v_fma_f64 v[200:201], v[6:7], s[10:11], v[200:201]
	v_add_f64 v[124:125], v[202:203], v[124:125]
	v_add_f64 v[82:83], v[200:201], v[82:83]
	v_fma_f64 v[200:201], v[6:7], s[4:5], -v[198:199]
	v_fma_f64 v[6:7], v[6:7], s[4:5], v[198:199]
	v_add_f64 v[198:199], v[138:139], -v[46:47]
	v_add_f64 v[126:127], v[200:201], v[126:127]
	v_add_f64 v[2:3], v[6:7], v[2:3]
	v_add_f64 v[6:7], v[130:131], v[144:145]
	v_mul_f64 v[200:201], v[198:199], s[40:41]
	v_fma_f64 v[202:203], v[6:7], s[10:11], -v[200:201]
	v_fma_f64 v[200:201], v[6:7], s[10:11], v[200:201]
	v_add_f64 v[12:13], v[202:203], v[12:13]
	v_add_f64 v[8:9], v[200:201], v[8:9]
	v_mul_f64 v[200:201], v[198:199], s[24:25]
	v_fma_f64 v[202:203], v[6:7], s[22:23], -v[200:201]
	v_fma_f64 v[200:201], v[6:7], s[22:23], v[200:201]
	v_add_f64 v[16:17], v[202:203], v[16:17]
	v_add_f64 v[14:15], v[200:201], v[14:15]
	v_mul_f64 v[200:201], v[198:199], s[52:53]
	v_fma_f64 v[202:203], v[6:7], s[34:35], -v[200:201]
	v_fma_f64 v[200:201], v[6:7], s[34:35], v[200:201]
	v_add_f64 v[20:21], v[202:203], v[20:21]
	v_add_f64 v[18:19], v[200:201], v[18:19]
	v_mul_f64 v[200:201], v[198:199], s[46:47]
	v_fma_f64 v[202:203], v[6:7], s[18:19], -v[200:201]
	v_fma_f64 v[200:201], v[6:7], s[18:19], v[200:201]
	v_add_f64 v[26:27], v[202:203], v[26:27]
	v_add_f64 v[22:23], v[200:201], v[22:23]
	v_mul_f64 v[200:201], v[198:199], s[50:51]
	v_fma_f64 v[202:203], v[6:7], s[14:15], -v[200:201]
	v_fma_f64 v[200:201], v[6:7], s[14:15], v[200:201]
	v_add_f64 v[30:31], v[202:203], v[30:31]
	v_add_f64 v[28:29], v[200:201], v[28:29]
	v_mul_f64 v[200:201], v[198:199], s[6:7]
	v_fma_f64 v[202:203], v[6:7], s[4:5], -v[200:201]
	v_fma_f64 v[200:201], v[6:7], s[4:5], v[200:201]
	v_add_f64 v[34:35], v[202:203], v[34:35]
	v_add_f64 v[32:33], v[200:201], v[32:33]
	v_mul_f64 v[200:201], v[198:199], s[38:39]
	v_mul_f64 v[198:199], v[198:199], s[30:31]
	v_fma_f64 v[202:203], v[6:7], s[16:17], -v[200:201]
	v_fma_f64 v[200:201], v[6:7], s[16:17], v[200:201]
	v_add_f64 v[124:125], v[202:203], v[124:125]
	v_add_f64 v[82:83], v[200:201], v[82:83]
	v_fma_f64 v[200:201], v[6:7], s[28:29], -v[198:199]
	v_fma_f64 v[6:7], v[6:7], s[28:29], v[198:199]
	v_add_f64 v[198:199], v[56:57], -v[50:51]
	v_add_f64 v[126:127], v[200:201], v[126:127]
	v_add_f64 v[2:3], v[6:7], v[2:3]
	v_add_f64 v[6:7], v[44:45], v[148:149]
	v_mul_f64 v[200:201], v[198:199], s[38:39]
	;; [unrolled: 42-line block ×5, first 2 shown]
	v_fma_f64 v[202:203], v[6:7], s[28:29], -v[200:201]
	v_fma_f64 v[200:201], v[6:7], s[28:29], v[200:201]
	v_add_f64 v[12:13], v[202:203], v[12:13]
	v_add_f64 v[8:9], v[200:201], v[8:9]
	v_mul_f64 v[200:201], v[198:199], s[42:43]
	v_fma_f64 v[202:203], v[6:7], s[10:11], -v[200:201]
	v_fma_f64 v[200:201], v[6:7], s[10:11], v[200:201]
	v_add_f64 v[16:17], v[202:203], v[16:17]
	v_add_f64 v[14:15], v[200:201], v[14:15]
	v_mul_f64 v[200:201], v[198:199], s[38:39]
	;; [unrolled: 5-line block ×4, first 2 shown]
	v_fma_f64 v[202:203], v[6:7], s[4:5], -v[200:201]
	v_add_f64 v[202:203], v[202:203], v[30:31]
	v_fma_f64 v[30:31], v[6:7], s[4:5], v[200:201]
	v_add_f64 v[28:29], v[30:31], v[28:29]
	v_mul_f64 v[30:31], v[198:199], s[36:37]
	v_fma_f64 v[200:201], v[6:7], s[34:35], -v[30:31]
	v_fma_f64 v[30:31], v[6:7], s[34:35], v[30:31]
	v_add_f64 v[200:201], v[200:201], v[34:35]
	v_add_f64 v[204:205], v[30:31], v[32:33]
	v_mul_f64 v[30:31], v[198:199], s[50:51]
	v_fma_f64 v[32:33], v[6:7], s[14:15], -v[30:31]
	v_fma_f64 v[30:31], v[6:7], s[14:15], v[30:31]
	v_add_f64 v[206:207], v[32:33], v[124:125]
	;; [unrolled: 5-line block ×4, first 2 shown]
	v_mul_f64 v[6:7], v[214:215], s[44:45]
	v_add_f64 v[2:3], v[2:3], v[8:9]
	v_fma_f64 v[8:9], v[212:213], s[4:5], -v[6:7]
	v_fma_f64 v[6:7], v[212:213], s[4:5], v[6:7]
	v_add_f64 v[34:35], v[8:9], v[16:17]
	v_mul_f64 v[8:9], v[214:215], s[30:31]
	v_add_f64 v[6:7], v[6:7], v[14:15]
	v_fma_f64 v[12:13], v[212:213], s[28:29], -v[8:9]
	v_fma_f64 v[8:9], v[212:213], s[28:29], v[8:9]
	v_add_f64 v[124:125], v[12:13], v[20:21]
	;; [unrolled: 5-line block ×3, first 2 shown]
	v_mul_f64 v[14:15], v[214:215], s[24:25]
	v_add_f64 v[12:13], v[12:13], v[22:23]
	v_mul_f64 v[22:23], v[214:215], s[56:57]
	v_fma_f64 v[16:17], v[212:213], s[22:23], -v[14:15]
	v_fma_f64 v[14:15], v[212:213], s[22:23], v[14:15]
	v_add_f64 v[32:33], v[16:17], v[202:203]
	v_mul_f64 v[16:17], v[214:215], s[42:43]
	v_add_f64 v[14:15], v[14:15], v[28:29]
	v_fma_f64 v[18:19], v[212:213], s[10:11], -v[16:17]
	v_fma_f64 v[16:17], v[212:213], s[10:11], v[16:17]
	v_add_f64 v[26:27], v[18:19], v[200:201]
	v_mul_f64 v[18:19], v[214:215], s[20:21]
	v_add_f64 v[16:17], v[16:17], v[204:205]
	v_fma_f64 v[20:21], v[212:213], s[18:19], -v[18:19]
	v_fma_f64 v[18:19], v[212:213], s[18:19], v[18:19]
	v_add_f64 v[28:29], v[20:21], v[206:207]
	v_fma_f64 v[20:21], v[212:213], s[16:17], -v[22:23]
	v_fma_f64 v[22:23], v[212:213], s[16:17], v[22:23]
	v_add_f64 v[18:19], v[18:19], v[82:83]
	s_waitcnt vmcnt(0)
	v_add3_u32 v82, v78, v79, v220
	ds_write2_b64 v82, v[10:11], v[70:71] offset1:7
	ds_write2_b64 v82, v[72:73], v[74:75] offset0:14 offset1:21
	ds_write2_b64 v82, v[66:67], v[68:69] offset0:28 offset1:35
	;; [unrolled: 1-line block ×7, first 2 shown]
	ds_write_b64 v82, v[128:129] offset:896
	v_and_b32_e32 v10, 0xffff, v247
	v_lshlrev_b32_sdwa v11, v197, v239 dst_sel:DWORD dst_unused:UNUSED_PAD src0_sel:DWORD src1_sel:BYTE_0
	v_mad_u32_u24 v10, 0x3b8, v10, 0
	v_add3_u32 v83, v10, v11, v220
	v_add_f64 v[20:21], v[20:21], v[198:199]
	v_add_f64 v[22:23], v[22:23], v[208:209]
	ds_write2_b64 v83, v[24:25], v[126:127] offset1:7
	ds_write2_b64 v83, v[34:35], v[124:125] offset0:14 offset1:21
	ds_write2_b64 v83, v[30:31], v[32:33] offset0:28 offset1:35
	ds_write2_b64 v83, v[26:27], v[28:29] offset0:42 offset1:49
	ds_write2_b64 v83, v[20:21], v[22:23] offset0:56 offset1:63
	ds_write2_b64 v83, v[18:19], v[16:17] offset0:70 offset1:77
	ds_write2_b64 v83, v[14:15], v[12:13] offset0:84 offset1:91
	ds_write2_b64 v83, v[8:9], v[6:7] offset0:98 offset1:105
	ds_write_b64 v83, v[2:3] offset:896
	s_and_saveexec_b32 s1, s0
	s_cbranch_execz .LBB0_18
; %bb.17:
	v_add_f64 v[6:7], v[210:211], -v[84:85]
	v_add_f64 v[2:3], v[96:97], v[86:87]
	v_mov_b32_e32 v162, v172
	v_mov_b32_e32 v163, v173
	;; [unrolled: 1-line block ×20, first 2 shown]
	v_mul_f64 v[62:63], v[6:7], s[30:31]
	v_mul_f64 v[66:67], v[6:7], s[24:25]
	v_mov_b32_e32 v56, v110
	v_mov_b32_e32 v103, v49
	;; [unrolled: 1-line block ×20, first 2 shown]
	v_fma_f64 v[8:9], v[2:3], s[28:29], -v[62:63]
	v_fma_f64 v[62:63], v[2:3], s[28:29], v[62:63]
	v_mov_b32_e32 v147, v97
	v_mov_b32_e32 v146, v96
	;; [unrolled: 1-line block ×14, first 2 shown]
	v_add_f64 v[12:13], v[4:5], v[8:9]
	s_clause 0x5
	buffer_load_dword v8, off, s[60:63], 0 offset:80
	buffer_load_dword v9, off, s[60:63], 0 offset:84
	buffer_load_dword v142, off, s[60:63], 0 offset:160
	buffer_load_dword v143, off, s[60:63], 0 offset:164
	buffer_load_dword v79, off, s[60:63], 0 offset:332
	buffer_load_dword v80, off, s[60:63], 0 offset:336
	v_add_f64 v[62:63], v[4:5], v[62:63]
	s_waitcnt vmcnt(4)
	v_add_f64 v[10:11], v[8:9], -v[114:115]
	s_waitcnt vmcnt(0)
	v_add_f64 v[8:9], v[79:80], v[142:143]
	v_mul_f64 v[64:65], v[10:11], s[42:43]
	v_mul_f64 v[68:69], v[10:11], s[46:47]
	;; [unrolled: 1-line block ×3, first 2 shown]
	v_fma_f64 v[14:15], v[8:9], s[10:11], -v[64:65]
	v_fma_f64 v[16:17], v[8:9], s[18:19], -v[68:69]
	v_fma_f64 v[64:65], v[8:9], s[10:11], v[64:65]
	v_fma_f64 v[208:209], v[8:9], s[16:17], v[206:207]
	v_add_f64 v[14:15], v[14:15], v[12:13]
	v_fma_f64 v[12:13], v[2:3], s[22:23], -v[66:67]
	v_add_f64 v[62:63], v[64:65], v[62:63]
	v_fma_f64 v[64:65], v[2:3], s[22:23], v[66:67]
	v_fma_f64 v[66:67], v[8:9], s[18:19], v[68:69]
	v_add_f64 v[12:13], v[4:5], v[12:13]
	v_add_f64 v[64:65], v[4:5], v[64:65]
	;; [unrolled: 1-line block ×3, first 2 shown]
	s_clause 0x3
	buffer_load_dword v12, off, s[60:63], 0 offset:64
	buffer_load_dword v13, off, s[60:63], 0 offset:68
	;; [unrolled: 1-line block ×4, first 2 shown]
	v_add_f64 v[64:65], v[66:67], v[64:65]
	s_waitcnt vmcnt(0)
	v_add_f64 v[18:19], v[12:13], -v[18:19]
	v_add_f64 v[12:13], v[104:105], v[90:91]
	v_mul_f64 v[70:71], v[18:19], s[38:39]
	v_mul_f64 v[72:73], v[18:19], s[6:7]
	v_fma_f64 v[20:21], v[12:13], s[16:17], -v[70:71]
	v_fma_f64 v[66:67], v[12:13], s[16:17], v[70:71]
	v_add_f64 v[20:21], v[20:21], v[14:15]
	v_fma_f64 v[14:15], v[12:13], s[4:5], -v[72:73]
	v_add_f64 v[62:63], v[66:67], v[62:63]
	v_fma_f64 v[66:67], v[12:13], s[4:5], v[72:73]
	v_mul_f64 v[72:73], v[10:11], s[36:37]
	v_add_f64 v[22:23], v[14:15], v[16:17]
	s_clause 0x7
	buffer_load_dword v14, off, s[60:63], 0 offset:56
	buffer_load_dword v15, off, s[60:63], 0 offset:60
	buffer_load_dword v16, off, s[60:63], 0 offset:136
	buffer_load_dword v17, off, s[60:63], 0 offset:140
	buffer_load_dword v120, off, s[60:63], 0 offset:88
	buffer_load_dword v121, off, s[60:63], 0 offset:92
	buffer_load_dword v134, off, s[60:63], 0 offset:152
	buffer_load_dword v135, off, s[60:63], 0 offset:156
	v_add_f64 v[64:65], v[66:67], v[64:65]
	s_waitcnt vmcnt(4)
	v_add_f64 v[16:17], v[14:15], -v[16:17]
	s_waitcnt vmcnt(0)
	v_add_f64 v[14:15], v[120:121], v[134:135]
	v_mul_f64 v[74:75], v[16:17], s[54:55]
	v_mul_f64 v[124:125], v[16:17], s[30:31]
	v_fma_f64 v[24:25], v[14:15], s[22:23], -v[74:75]
	v_fma_f64 v[66:67], v[14:15], s[22:23], v[74:75]
	v_fma_f64 v[74:75], v[8:9], s[34:35], v[72:73]
	v_add_f64 v[24:25], v[24:25], v[20:21]
	v_fma_f64 v[20:21], v[14:15], s[28:29], -v[124:125]
	v_add_f64 v[62:63], v[66:67], v[62:63]
	v_fma_f64 v[66:67], v[14:15], s[28:29], v[124:125]
	v_add_f64 v[26:27], v[20:21], v[22:23]
	s_clause 0x3
	buffer_load_dword v20, off, s[60:63], 0 offset:72
	buffer_load_dword v21, off, s[60:63], 0 offset:76
	;; [unrolled: 1-line block ×4, first 2 shown]
	v_add_f64 v[64:65], v[66:67], v[64:65]
	s_waitcnt vmcnt(0)
	v_add_f64 v[22:23], v[20:21], -v[22:23]
	v_add_f64 v[20:21], v[122:123], v[112:113]
	v_mov_b32_e32 v113, v80
	v_mov_b32_e32 v112, v79
	;; [unrolled: 1-line block ×6, first 2 shown]
	v_mul_f64 v[126:127], v[22:23], s[6:7]
	v_mul_f64 v[128:129], v[22:23], s[56:57]
	v_fma_f64 v[28:29], v[20:21], s[4:5], -v[126:127]
	v_fma_f64 v[66:67], v[20:21], s[4:5], v[126:127]
	v_add_f64 v[30:31], v[28:29], v[24:25]
	v_fma_f64 v[24:25], v[20:21], s[16:17], -v[128:129]
	v_add_f64 v[62:63], v[66:67], v[62:63]
	v_fma_f64 v[66:67], v[20:21], s[16:17], v[128:129]
	v_add_f64 v[26:27], v[24:25], v[26:27]
	s_clause 0x3
	buffer_load_dword v24, off, s[60:63], 0 offset:144
	buffer_load_dword v25, off, s[60:63], 0 offset:148
	;; [unrolled: 1-line block ×4, first 2 shown]
	v_add_f64 v[64:65], v[66:67], v[64:65]
	s_waitcnt vmcnt(2)
	v_add_f64 v[28:29], v[118:119], -v[24:25]
	s_waitcnt vmcnt(0)
	v_add_f64 v[24:25], v[40:41], v[110:111]
	v_mov_b32_e32 v111, v109
	v_mov_b32_e32 v110, v108
	;; [unrolled: 1-line block ×4, first 2 shown]
	v_mul_f64 v[132:133], v[28:29], s[36:37]
	v_mul_f64 v[180:181], v[28:29], s[26:27]
	v_fma_f64 v[32:33], v[24:25], s[34:35], -v[132:133]
	v_fma_f64 v[66:67], v[24:25], s[34:35], v[132:133]
	v_add_f64 v[30:31], v[32:33], v[30:31]
	v_fma_f64 v[32:33], v[24:25], s[14:15], -v[180:181]
	v_add_f64 v[62:63], v[66:67], v[62:63]
	v_fma_f64 v[66:67], v[24:25], s[14:15], v[180:181]
	v_add_f64 v[34:35], v[32:33], v[26:27]
	s_clause 0x3
	buffer_load_dword v26, off, s[60:63], 0 offset:96
	buffer_load_dword v27, off, s[60:63], 0 offset:100
	;; [unrolled: 1-line block ×4, first 2 shown]
	v_add_f64 v[64:65], v[66:67], v[64:65]
	s_waitcnt vmcnt(2)
	v_add_f64 v[32:33], v[26:27], -v[116:117]
	s_waitcnt vmcnt(0)
	v_add_f64 v[26:27], v[44:45], v[52:53]
	v_mul_f64 v[184:185], v[32:33], s[50:51]
	v_mul_f64 v[188:189], v[32:33], s[36:37]
	v_fma_f64 v[94:95], v[26:27], s[14:15], -v[184:185]
	v_fma_f64 v[66:67], v[26:27], s[14:15], v[184:185]
	v_add_f64 v[94:95], v[94:95], v[30:31]
	v_fma_f64 v[30:31], v[26:27], s[34:35], -v[188:189]
	v_add_f64 v[62:63], v[66:67], v[62:63]
	v_fma_f64 v[66:67], v[26:27], s[34:35], v[188:189]
	v_add_f64 v[198:199], v[30:31], v[34:35]
	s_clause 0x1
	buffer_load_dword v30, off, s[60:63], 0 offset:32
	buffer_load_dword v31, off, s[60:63], 0 offset:36
	v_add_f64 v[64:65], v[66:67], v[64:65]
	s_waitcnt vmcnt(0)
	v_add_f64 v[34:35], v[30:31], -v[108:109]
	s_clause 0x4
	buffer_load_dword v108, off, s[60:63], 0 offset:40
	buffer_load_dword v109, off, s[60:63], 0 offset:44
	;; [unrolled: 1-line block ×5, first 2 shown]
	v_mul_f64 v[192:193], v[34:35], s[20:21]
	v_mul_f64 v[232:233], v[34:35], s[42:43]
	s_waitcnt vmcnt(1)
	v_add_f64 v[30:31], v[108:109], v[116:117]
	s_waitcnt vmcnt(0)
	v_lshlrev_b32_sdwa v78, v197, v36 dst_sel:DWORD dst_unused:UNUSED_PAD src0_sel:DWORD src1_sel:BYTE_0
	v_mov_b32_e32 v36, v122
	v_mov_b32_e32 v37, v123
	v_mov_b32_e32 v123, v115
	v_mov_b32_e32 v122, v114
	v_add3_u32 v90, 0, v78, v220
	v_mov_b32_e32 v115, v85
	v_mov_b32_e32 v114, v84
	v_add_nc_u32_e32 v91, 0x1000, v90
	v_fma_f64 v[200:201], v[30:31], s[18:19], -v[192:193]
	v_fma_f64 v[66:67], v[30:31], s[18:19], v[192:193]
	v_add_f64 v[250:251], v[200:201], v[94:95]
	v_fma_f64 v[94:95], v[30:31], s[10:11], -v[232:233]
	v_add_f64 v[62:63], v[66:67], v[62:63]
	v_fma_f64 v[66:67], v[30:31], s[10:11], v[232:233]
	v_add_f64 v[252:253], v[94:95], v[198:199]
	v_mul_f64 v[94:95], v[6:7], s[36:37]
	v_mul_f64 v[198:199], v[10:11], s[44:45]
	v_add_f64 v[64:65], v[66:67], v[64:65]
	v_mul_f64 v[66:67], v[10:11], s[48:49]
	ds_write2_b64 v91, v[252:253], v[250:251] offset0:6 offset1:13
	v_fma_f64 v[196:197], v[2:3], s[34:35], v[94:95]
	v_fma_f64 v[94:95], v[2:3], s[34:35], -v[94:95]
	v_fma_f64 v[200:201], v[8:9], s[4:5], v[198:199]
	v_fma_f64 v[198:199], v[8:9], s[4:5], -v[198:199]
	ds_write2_b64 v91, v[62:63], v[64:65] offset0:34 offset1:41
	v_mul_f64 v[62:63], v[6:7], s[20:21]
	v_fma_f64 v[68:69], v[8:9], s[28:29], v[66:67]
	v_add_f64 v[196:197], v[4:5], v[196:197]
	v_add_f64 v[94:95], v[4:5], v[94:95]
	v_fma_f64 v[64:65], v[2:3], s[18:19], v[62:63]
	v_fma_f64 v[62:63], v[2:3], s[18:19], -v[62:63]
	v_add_f64 v[196:197], v[200:201], v[196:197]
	v_add_f64 v[94:95], v[198:199], v[94:95]
	v_mul_f64 v[198:199], v[18:19], s[30:31]
	v_add_f64 v[64:65], v[4:5], v[64:65]
	v_add_f64 v[62:63], v[4:5], v[62:63]
	v_fma_f64 v[200:201], v[12:13], s[28:29], v[198:199]
	v_fma_f64 v[198:199], v[12:13], s[28:29], -v[198:199]
	v_add_f64 v[64:65], v[68:69], v[64:65]
	v_mul_f64 v[68:69], v[6:7], s[38:39]
	v_add_f64 v[196:197], v[200:201], v[196:197]
	v_add_f64 v[94:95], v[198:199], v[94:95]
	v_mul_f64 v[198:199], v[16:17], s[50:51]
	v_fma_f64 v[70:71], v[2:3], s[16:17], v[68:69]
	v_fma_f64 v[200:201], v[14:15], s[14:15], v[198:199]
	v_fma_f64 v[198:199], v[14:15], s[14:15], -v[198:199]
	v_add_f64 v[70:71], v[4:5], v[70:71]
	v_add_f64 v[196:197], v[200:201], v[196:197]
	;; [unrolled: 1-line block ×3, first 2 shown]
	v_mul_f64 v[198:199], v[22:23], s[24:25]
	v_add_f64 v[70:71], v[74:75], v[70:71]
	v_mul_f64 v[74:75], v[18:19], s[50:51]
	v_fma_f64 v[200:201], v[20:21], s[22:23], v[198:199]
	v_fma_f64 v[198:199], v[20:21], s[22:23], -v[198:199]
	v_add_f64 v[196:197], v[200:201], v[196:197]
	v_add_f64 v[94:95], v[198:199], v[94:95]
	v_mul_f64 v[198:199], v[28:29], s[42:43]
	v_fma_f64 v[200:201], v[24:25], s[10:11], v[198:199]
	v_fma_f64 v[198:199], v[24:25], s[10:11], -v[198:199]
	v_add_f64 v[196:197], v[200:201], v[196:197]
	;; [unrolled: 5-line block ×4, first 2 shown]
	v_add_f64 v[94:95], v[198:199], v[94:95]
	ds_write2_b64 v91, v[94:95], v[196:197] offset0:20 offset1:27
	v_fma_f64 v[94:95], v[12:13], s[14:15], v[74:75]
	v_add_f64 v[64:65], v[94:95], v[64:65]
	v_mul_f64 v[94:95], v[18:19], s[46:47]
	v_fma_f64 v[124:125], v[12:13], s[18:19], v[94:95]
	v_add_f64 v[70:71], v[124:125], v[70:71]
	v_mul_f64 v[124:125], v[16:17], s[40:41]
	;; [unrolled: 3-line block ×12, first 2 shown]
	v_mul_f64 v[10:11], v[10:11], s[26:27]
	ds_write2_b64 v91, v[64:65], v[70:71] offset0:48 offset1:55
	v_mul_f64 v[64:65], v[6:7], s[40:41]
	v_fma_f64 v[202:203], v[8:9], s[22:23], v[200:201]
	v_fma_f64 v[70:71], v[2:3], s[10:11], v[64:65]
	v_fma_f64 v[64:65], v[2:3], s[10:11], -v[64:65]
	v_add_f64 v[70:71], v[4:5], v[70:71]
	v_add_f64 v[64:65], v[4:5], v[64:65]
	;; [unrolled: 1-line block ×3, first 2 shown]
	v_mul_f64 v[202:203], v[6:7], s[26:27]
	v_mul_f64 v[6:7], v[6:7], s[6:7]
	v_fma_f64 v[204:205], v[2:3], s[14:15], v[202:203]
	v_add_f64 v[204:205], v[4:5], v[204:205]
	v_add_f64 v[204:205], v[208:209], v[204:205]
	v_mul_f64 v[208:209], v[18:19], s[52:53]
	v_fma_f64 v[212:213], v[12:13], s[34:35], v[208:209]
	v_add_f64 v[70:71], v[212:213], v[70:71]
	v_mul_f64 v[212:213], v[18:19], s[24:25]
	v_fma_f64 v[214:215], v[12:13], s[22:23], v[212:213]
	;; [unrolled: 3-line block ×12, first 2 shown]
	v_add_f64 v[78:79], v[78:79], v[88:89]
	ds_write2_b64 v91, v[70:71], v[78:79] offset0:62 offset1:69
	v_fma_f64 v[70:71], v[8:9], s[22:23], -v[200:201]
	v_fma_f64 v[78:79], v[8:9], s[16:17], -v[206:207]
	v_add_f64 v[64:65], v[70:71], v[64:65]
	v_fma_f64 v[70:71], v[12:13], s[34:35], -v[208:209]
	v_add_f64 v[64:65], v[70:71], v[64:65]
	;; [unrolled: 2-line block ×6, first 2 shown]
	v_fma_f64 v[70:71], v[30:31], s[28:29], -v[100:101]
	v_mov_b32_e32 v100, v176
	v_mov_b32_e32 v101, v177
	;; [unrolled: 1-line block ×4, first 2 shown]
	v_add_f64 v[64:65], v[70:71], v[64:65]
	v_fma_f64 v[70:71], v[2:3], s[14:15], -v[202:203]
	v_add_f64 v[70:71], v[4:5], v[70:71]
	v_add_f64 v[70:71], v[78:79], v[70:71]
	v_fma_f64 v[78:79], v[12:13], s[22:23], -v[212:213]
	v_add_f64 v[70:71], v[78:79], v[70:71]
	v_fma_f64 v[78:79], v[14:15], s[34:35], -v[232:233]
	;; [unrolled: 2-line block ×4, first 2 shown]
	v_mov_b32_e32 v84, v114
	v_mov_b32_e32 v85, v115
	;; [unrolled: 1-line block ×6, first 2 shown]
	v_add_f64 v[70:71], v[78:79], v[70:71]
	v_fma_f64 v[78:79], v[26:27], s[10:11], -v[96:97]
	v_mov_b32_e32 v96, v146
	v_mov_b32_e32 v97, v147
	;; [unrolled: 1-line block ×6, first 2 shown]
	v_add_f64 v[70:71], v[78:79], v[70:71]
	v_fma_f64 v[78:79], v[30:31], s[4:5], -v[104:105]
	v_mov_b32_e32 v104, v118
	v_mov_b32_e32 v105, v119
	;; [unrolled: 1-line block ×12, first 2 shown]
	v_add_f64 v[70:71], v[78:79], v[70:71]
	v_add_nc_u32_e32 v78, 0x800, v90
	ds_write2_b64 v78, v[70:71], v[64:65] offset0:234 offset1:241
	v_fma_f64 v[64:65], v[8:9], s[28:29], -v[66:67]
	v_fma_f64 v[66:67], v[8:9], s[34:35], -v[72:73]
	v_add_f64 v[62:63], v[64:65], v[62:63]
	v_fma_f64 v[64:65], v[12:13], s[14:15], -v[74:75]
	v_add_f64 v[62:63], v[64:65], v[62:63]
	;; [unrolled: 2-line block ×8, first 2 shown]
	v_add_f64 v[64:65], v[66:67], v[64:65]
	v_fma_f64 v[66:67], v[12:13], s[18:19], -v[94:95]
	v_add_f64 v[64:65], v[66:67], v[64:65]
	v_fma_f64 v[66:67], v[14:15], s[4:5], -v[126:127]
	v_add_f64 v[64:65], v[66:67], v[64:65]
	v_fma_f64 v[66:67], v[20:21], s[10:11], -v[132:133]
	v_add_f64 v[64:65], v[66:67], v[64:65]
	v_fma_f64 v[66:67], v[24:25], s[28:29], -v[184:185]
	v_add_f64 v[64:65], v[66:67], v[64:65]
	v_fma_f64 v[66:67], v[26:27], s[22:23], -v[192:193]
	v_add_f64 v[64:65], v[66:67], v[64:65]
	v_fma_f64 v[66:67], v[30:31], s[14:15], -v[198:199]
	v_add_f64 v[64:65], v[66:67], v[64:65]
	ds_write2_b64 v78, v[64:65], v[62:63] offset0:248 offset1:255
	v_fma_f64 v[62:63], v[2:3], s[4:5], -v[6:7]
	v_fma_f64 v[2:3], v[2:3], s[4:5], v[6:7]
	v_fma_f64 v[64:65], v[8:9], s[14:15], -v[10:11]
	v_mul_f64 v[6:7], v[18:19], s[40:41]
	v_fma_f64 v[8:9], v[8:9], s[14:15], v[10:11]
	v_add_f64 v[62:63], v[4:5], v[62:63]
	v_add_f64 v[2:3], v[4:5], v[2:3]
	;; [unrolled: 1-line block ×3, first 2 shown]
	v_fma_f64 v[18:19], v[12:13], s[10:11], -v[6:7]
	v_fma_f64 v[6:7], v[12:13], s[10:11], v[6:7]
	v_add_f64 v[62:63], v[64:65], v[62:63]
	v_add_f64 v[2:3], v[8:9], v[2:3]
	;; [unrolled: 1-line block ×3, first 2 shown]
	v_mul_f64 v[8:9], v[16:17], s[38:39]
	v_add_f64 v[18:19], v[18:19], v[62:63]
	v_add_f64 v[2:3], v[6:7], v[2:3]
	;; [unrolled: 1-line block ×3, first 2 shown]
	v_fma_f64 v[10:11], v[14:15], s[16:17], -v[8:9]
	v_fma_f64 v[8:9], v[14:15], s[16:17], v[8:9]
	v_mul_f64 v[6:7], v[22:23], s[20:21]
	v_add_f64 v[4:5], v[4:5], v[120:121]
	v_mov_b32_e32 v121, v53
	v_mov_b32_e32 v120, v52
	v_add_f64 v[10:11], v[10:11], v[18:19]
	v_fma_f64 v[12:13], v[20:21], s[18:19], -v[6:7]
	v_fma_f64 v[6:7], v[20:21], s[18:19], v[6:7]
	v_add_f64 v[2:3], v[8:9], v[2:3]
	v_mul_f64 v[8:9], v[28:29], s[24:25]
	v_add_f64 v[4:5], v[4:5], v[122:123]
	v_add_f64 v[10:11], v[12:13], v[10:11]
	;; [unrolled: 1-line block ×3, first 2 shown]
	v_fma_f64 v[12:13], v[24:25], s[22:23], -v[8:9]
	v_fma_f64 v[8:9], v[24:25], s[22:23], v[8:9]
	v_mul_f64 v[6:7], v[32:33], s[30:31]
	v_add_f64 v[4:5], v[4:5], v[40:41]
	v_mov_b32_e32 v40, v166
	v_mov_b32_e32 v41, v167
	v_add_f64 v[10:11], v[12:13], v[10:11]
	v_add_f64 v[2:3], v[8:9], v[2:3]
	v_fma_f64 v[12:13], v[26:27], s[28:29], -v[6:7]
	v_mul_f64 v[8:9], v[34:35], s[36:37]
	v_fma_f64 v[6:7], v[26:27], s[28:29], v[6:7]
	v_add_f64 v[4:5], v[4:5], v[44:45]
	v_mov_b32_e32 v44, v186
	v_mov_b32_e32 v45, v187
	v_add_f64 v[10:11], v[12:13], v[10:11]
	v_fma_f64 v[12:13], v[30:31], s[34:35], -v[8:9]
	v_fma_f64 v[8:9], v[30:31], s[34:35], v[8:9]
	v_add_f64 v[2:3], v[6:7], v[2:3]
	v_add_f64 v[4:5], v[4:5], v[108:109]
	v_mov_b32_e32 v108, v110
	v_mov_b32_e32 v109, v111
	;; [unrolled: 1-line block ×6, first 2 shown]
	v_add_f64 v[10:11], v[12:13], v[10:11]
	v_add_f64 v[2:3], v[8:9], v[2:3]
	;; [unrolled: 1-line block ×3, first 2 shown]
	v_mov_b32_e32 v117, v49
	v_mov_b32_e32 v116, v48
	v_mov_b32_e32 v48, v102
	v_mov_b32_e32 v49, v103
	v_add_f64 v[4:5], v[4:5], v[120:121]
	v_add_f64 v[4:5], v[4:5], v[110:111]
	;; [unrolled: 1-line block ×4, first 2 shown]
	v_mov_b32_e32 v135, v131
	v_mov_b32_e32 v134, v130
	;; [unrolled: 1-line block ×6, first 2 shown]
	v_add_f64 v[4:5], v[4:5], v[138:139]
	v_add_f64 v[4:5], v[4:5], v[142:143]
	v_mov_b32_e32 v142, v154
	v_mov_b32_e32 v143, v155
	;; [unrolled: 1-line block ×6, first 2 shown]
	v_add_f64 v[4:5], v[4:5], v[86:87]
	ds_write2_b64 v78, v[4:5], v[10:11] offset0:220 offset1:227
	ds_write_b64 v90, v[2:3] offset:4704
	v_mov_b32_e32 v90, v138
	v_mov_b32_e32 v91, v139
	;; [unrolled: 1-line block ×6, first 2 shown]
.LBB0_18:
	s_or_b32 exec_lo, exec_lo, s1
	s_clause 0x7
	buffer_load_dword v36, off, s[60:63], 0 offset:216
	buffer_load_dword v37, off, s[60:63], 0 offset:220
	;; [unrolled: 1-line block ×8, first 2 shown]
	v_add_f64 v[2:3], v[228:229], v[248:249]
	s_clause 0x3
	buffer_load_dword v58, off, s[60:63], 0 offset:300
	buffer_load_dword v59, off, s[60:63], 0 offset:304
	;; [unrolled: 1-line block ×4, first 2 shown]
	v_add_f64 v[2:3], v[2:3], v[237:238]
	v_add_f64 v[2:3], v[2:3], v[222:223]
	;; [unrolled: 1-line block ×5, first 2 shown]
	s_waitcnt vmcnt(10)
	v_add_f64 v[2:3], v[2:3], v[36:37]
	s_waitcnt vmcnt(4)
	v_add_f64 v[4:5], v[4:5], -v[6:7]
	s_waitcnt vmcnt(0)
	v_add_f64 v[62:63], v[58:59], -v[60:61]
	v_add_f64 v[2:3], v[2:3], v[190:191]
	v_mul_f64 v[6:7], v[4:5], s[6:7]
	v_mul_f64 v[10:11], v[4:5], s[26:27]
	;; [unrolled: 1-line block ×9, first 2 shown]
	v_add_f64 v[2:3], v[2:3], v[98:99]
	v_add_f64 v[2:3], v[2:3], v[52:53]
	;; [unrolled: 1-line block ×9, first 2 shown]
	v_fma_f64 v[8:9], v[2:3], s[4:5], v[6:7]
	v_fma_f64 v[6:7], v[2:3], s[4:5], -v[6:7]
	v_fma_f64 v[12:13], v[2:3], s[14:15], v[10:11]
	v_fma_f64 v[10:11], v[2:3], s[14:15], -v[10:11]
	v_fma_f64 v[16:17], v[2:3], s[10:11], v[14:15]
	v_fma_f64 v[14:15], v[2:3], s[10:11], -v[14:15]
	v_fma_f64 v[20:21], v[2:3], s[16:17], v[18:19]
	v_fma_f64 v[18:19], v[2:3], s[16:17], -v[18:19]
	v_fma_f64 v[24:25], v[2:3], s[18:19], v[22:23]
	v_fma_f64 v[22:23], v[2:3], s[18:19], -v[22:23]
	v_fma_f64 v[28:29], v[2:3], s[22:23], v[26:27]
	v_fma_f64 v[26:27], v[2:3], s[22:23], -v[26:27]
	v_fma_f64 v[32:33], v[2:3], s[28:29], v[30:31]
	v_fma_f64 v[30:31], v[2:3], s[28:29], -v[30:31]
	v_fma_f64 v[34:35], v[2:3], s[34:35], v[4:5]
	v_fma_f64 v[2:3], v[2:3], s[34:35], -v[4:5]
	v_add_f64 v[4:5], v[237:238], v[242:243]
	v_add_f64 v[8:9], v[228:229], v[8:9]
	;; [unrolled: 1-line block ×17, first 2 shown]
	v_fma_f64 v[66:67], v[4:5], s[14:15], v[64:65]
	v_fma_f64 v[64:65], v[4:5], s[14:15], -v[64:65]
	v_add_f64 v[8:9], v[66:67], v[8:9]
	v_add_f64 v[6:7], v[64:65], v[6:7]
	v_mul_f64 v[64:65], v[62:63], s[38:39]
	v_fma_f64 v[66:67], v[4:5], s[16:17], v[64:65]
	v_fma_f64 v[64:65], v[4:5], s[16:17], -v[64:65]
	v_add_f64 v[12:13], v[66:67], v[12:13]
	v_add_f64 v[10:11], v[64:65], v[10:11]
	v_mul_f64 v[64:65], v[62:63], s[24:25]
	;; [unrolled: 5-line block ×6, first 2 shown]
	v_mul_f64 v[62:63], v[62:63], s[44:45]
	v_fma_f64 v[66:67], v[4:5], s[10:11], v[64:65]
	v_fma_f64 v[64:65], v[4:5], s[10:11], -v[64:65]
	v_add_f64 v[32:33], v[66:67], v[32:33]
	v_add_f64 v[30:31], v[64:65], v[30:31]
	v_fma_f64 v[64:65], v[4:5], s[4:5], v[62:63]
	v_fma_f64 v[4:5], v[4:5], s[4:5], -v[62:63]
	s_clause 0x3
	buffer_load_dword v58, off, s[60:63], 0 offset:280
	buffer_load_dword v59, off, s[60:63], 0 offset:284
	;; [unrolled: 1-line block ×4, first 2 shown]
	v_add_f64 v[34:35], v[64:65], v[34:35]
	v_add_f64 v[2:3], v[4:5], v[2:3]
	v_add_f64 v[4:5], v[222:223], v[224:225]
	s_waitcnt vmcnt(0)
	v_add_f64 v[62:63], v[58:59], -v[62:63]
	s_clause 0x1
	buffer_load_dword v58, off, s[60:63], 0 offset:272
	buffer_load_dword v59, off, s[60:63], 0 offset:276
	v_mul_f64 v[64:65], v[62:63], s[40:41]
	v_fma_f64 v[66:67], v[4:5], s[10:11], v[64:65]
	v_fma_f64 v[64:65], v[4:5], s[10:11], -v[64:65]
	v_add_f64 v[8:9], v[66:67], v[8:9]
	v_add_f64 v[6:7], v[64:65], v[6:7]
	v_mul_f64 v[64:65], v[62:63], s[24:25]
	v_fma_f64 v[66:67], v[4:5], s[22:23], v[64:65]
	v_fma_f64 v[64:65], v[4:5], s[22:23], -v[64:65]
	v_add_f64 v[12:13], v[66:67], v[12:13]
	v_add_f64 v[10:11], v[64:65], v[10:11]
	;; [unrolled: 5-line block ×6, first 2 shown]
	v_mul_f64 v[64:65], v[62:63], s[38:39]
	v_mul_f64 v[62:63], v[62:63], s[30:31]
	v_fma_f64 v[66:67], v[4:5], s[16:17], v[64:65]
	v_fma_f64 v[64:65], v[4:5], s[16:17], -v[64:65]
	v_add_f64 v[32:33], v[66:67], v[32:33]
	v_add_f64 v[30:31], v[64:65], v[30:31]
	v_fma_f64 v[64:65], v[4:5], s[28:29], v[62:63]
	v_fma_f64 v[4:5], v[4:5], s[28:29], -v[62:63]
	s_waitcnt vmcnt(0)
	v_add_f64 v[62:63], v[58:59], -v[240:241]
	s_clause 0x1
	buffer_load_dword v58, off, s[60:63], 0 offset:264
	buffer_load_dword v59, off, s[60:63], 0 offset:268
	v_add_f64 v[34:35], v[64:65], v[34:35]
	v_add_f64 v[2:3], v[4:5], v[2:3]
	;; [unrolled: 1-line block ×3, first 2 shown]
	v_mul_f64 v[64:65], v[62:63], s[38:39]
	v_fma_f64 v[66:67], v[4:5], s[16:17], v[64:65]
	v_fma_f64 v[64:65], v[4:5], s[16:17], -v[64:65]
	v_add_f64 v[8:9], v[66:67], v[8:9]
	v_add_f64 v[6:7], v[64:65], v[6:7]
	v_mul_f64 v[64:65], v[62:63], s[36:37]
	v_fma_f64 v[66:67], v[4:5], s[34:35], v[64:65]
	v_fma_f64 v[64:65], v[4:5], s[34:35], -v[64:65]
	v_add_f64 v[12:13], v[66:67], v[12:13]
	v_add_f64 v[10:11], v[64:65], v[10:11]
	;; [unrolled: 5-line block ×6, first 2 shown]
	v_mul_f64 v[64:65], v[62:63], s[54:55]
	v_mul_f64 v[62:63], v[62:63], s[50:51]
	v_fma_f64 v[66:67], v[4:5], s[22:23], v[64:65]
	v_fma_f64 v[64:65], v[4:5], s[22:23], -v[64:65]
	v_add_f64 v[32:33], v[66:67], v[32:33]
	v_add_f64 v[30:31], v[64:65], v[30:31]
	v_fma_f64 v[64:65], v[4:5], s[14:15], v[62:63]
	v_fma_f64 v[4:5], v[4:5], s[14:15], -v[62:63]
	s_waitcnt vmcnt(0)
	v_add_f64 v[62:63], v[58:59], -v[226:227]
	v_add_f64 v[34:35], v[64:65], v[34:35]
	v_add_f64 v[2:3], v[4:5], v[2:3]
	;; [unrolled: 1-line block ×3, first 2 shown]
	v_mul_f64 v[64:65], v[62:63], s[20:21]
	v_fma_f64 v[66:67], v[4:5], s[18:19], v[64:65]
	v_fma_f64 v[64:65], v[4:5], s[18:19], -v[64:65]
	v_add_f64 v[8:9], v[66:67], v[8:9]
	v_add_f64 v[6:7], v[64:65], v[6:7]
	v_mul_f64 v[64:65], v[62:63], s[48:49]
	v_fma_f64 v[66:67], v[4:5], s[28:29], v[64:65]
	v_fma_f64 v[64:65], v[4:5], s[28:29], -v[64:65]
	v_add_f64 v[12:13], v[66:67], v[12:13]
	v_add_f64 v[10:11], v[64:65], v[10:11]
	;; [unrolled: 5-line block ×6, first 2 shown]
	v_mul_f64 v[64:65], v[62:63], s[6:7]
	v_mul_f64 v[62:63], v[62:63], s[24:25]
	v_fma_f64 v[66:67], v[4:5], s[4:5], v[64:65]
	v_fma_f64 v[64:65], v[4:5], s[4:5], -v[64:65]
	v_add_f64 v[32:33], v[66:67], v[32:33]
	v_add_f64 v[30:31], v[64:65], v[30:31]
	v_fma_f64 v[64:65], v[4:5], s[22:23], v[62:63]
	v_fma_f64 v[4:5], v[4:5], s[22:23], -v[62:63]
	s_clause 0x3
	buffer_load_dword v58, off, s[60:63], 0 offset:232
	buffer_load_dword v59, off, s[60:63], 0 offset:236
	;; [unrolled: 1-line block ×4, first 2 shown]
	v_add_f64 v[34:35], v[64:65], v[34:35]
	v_add_f64 v[2:3], v[4:5], v[2:3]
	;; [unrolled: 1-line block ×3, first 2 shown]
	s_waitcnt vmcnt(0)
	v_add_f64 v[62:63], v[58:59], -v[62:63]
	v_add_nc_u32_e32 v58, 0x1000, v244
	v_mul_f64 v[64:65], v[62:63], s[24:25]
	v_fma_f64 v[66:67], v[4:5], s[22:23], v[64:65]
	v_fma_f64 v[64:65], v[4:5], s[22:23], -v[64:65]
	v_add_f64 v[8:9], v[66:67], v[8:9]
	v_add_f64 v[6:7], v[64:65], v[6:7]
	v_mul_f64 v[64:65], v[62:63], s[46:47]
	v_fma_f64 v[66:67], v[4:5], s[18:19], v[64:65]
	v_fma_f64 v[64:65], v[4:5], s[18:19], -v[64:65]
	v_add_f64 v[12:13], v[66:67], v[12:13]
	v_add_f64 v[10:11], v[64:65], v[10:11]
	;; [unrolled: 5-line block ×6, first 2 shown]
	v_mul_f64 v[64:65], v[62:63], s[36:37]
	v_mul_f64 v[62:63], v[62:63], s[42:43]
	v_fma_f64 v[66:67], v[4:5], s[34:35], v[64:65]
	v_fma_f64 v[64:65], v[4:5], s[34:35], -v[64:65]
	v_add_f64 v[32:33], v[66:67], v[32:33]
	v_add_f64 v[30:31], v[64:65], v[30:31]
	v_fma_f64 v[64:65], v[4:5], s[10:11], v[62:63]
	v_fma_f64 v[4:5], v[4:5], s[10:11], -v[62:63]
	v_add_f64 v[34:35], v[64:65], v[34:35]
	v_add_f64 v[2:3], v[4:5], v[2:3]
	;; [unrolled: 1-line block ×3, first 2 shown]
	s_clause 0x3
	buffer_load_dword v36, off, s[60:63], 0 offset:176
	buffer_load_dword v37, off, s[60:63], 0 offset:180
	;; [unrolled: 1-line block ×4, first 2 shown]
	s_waitcnt vmcnt(0)
	v_add_f64 v[62:63], v[36:37], -v[52:53]
	s_clause 0x3
	buffer_load_dword v36, off, s[60:63], 0 offset:168
	buffer_load_dword v37, off, s[60:63], 0 offset:172
	;; [unrolled: 1-line block ×4, first 2 shown]
	v_mul_f64 v[64:65], v[62:63], s[30:31]
	v_fma_f64 v[66:67], v[4:5], s[28:29], v[64:65]
	v_fma_f64 v[64:65], v[4:5], s[28:29], -v[64:65]
	v_add_f64 v[8:9], v[66:67], v[8:9]
	v_add_f64 v[6:7], v[64:65], v[6:7]
	v_mul_f64 v[64:65], v[62:63], s[42:43]
	v_fma_f64 v[66:67], v[4:5], s[10:11], v[64:65]
	v_fma_f64 v[64:65], v[4:5], s[10:11], -v[64:65]
	v_add_f64 v[12:13], v[66:67], v[12:13]
	v_add_f64 v[10:11], v[64:65], v[10:11]
	;; [unrolled: 5-line block ×6, first 2 shown]
	v_mul_f64 v[64:65], v[62:63], s[50:51]
	v_mul_f64 v[62:63], v[62:63], s[20:21]
	v_fma_f64 v[66:67], v[4:5], s[14:15], v[64:65]
	v_fma_f64 v[64:65], v[4:5], s[14:15], -v[64:65]
	v_add_f64 v[32:33], v[66:67], v[32:33]
	v_add_f64 v[30:31], v[64:65], v[30:31]
	v_fma_f64 v[64:65], v[4:5], s[18:19], v[62:63]
	v_fma_f64 v[4:5], v[4:5], s[18:19], -v[62:63]
	s_waitcnt vmcnt(0)
	v_add_f64 v[62:63], v[36:37], -v[52:53]
	v_add_f64 v[34:35], v[64:65], v[34:35]
	v_add_f64 v[2:3], v[4:5], v[2:3]
	;; [unrolled: 1-line block ×3, first 2 shown]
	v_mul_f64 v[64:65], v[62:63], s[36:37]
	v_fma_f64 v[66:67], v[4:5], s[34:35], v[64:65]
	v_add_f64 v[200:201], v[66:67], v[8:9]
	v_fma_f64 v[8:9], v[4:5], s[34:35], -v[64:65]
	v_add_f64 v[158:159], v[8:9], v[6:7]
	v_mul_f64 v[6:7], v[62:63], s[44:45]
	v_fma_f64 v[8:9], v[4:5], s[4:5], v[6:7]
	v_fma_f64 v[6:7], v[4:5], s[4:5], -v[6:7]
	v_add_f64 v[206:207], v[8:9], v[12:13]
	v_add_f64 v[166:167], v[6:7], v[10:11]
	v_mul_f64 v[6:7], v[62:63], s[30:31]
	v_fma_f64 v[8:9], v[4:5], s[28:29], v[6:7]
	v_fma_f64 v[6:7], v[4:5], s[28:29], -v[6:7]
	v_add_f64 v[208:209], v[8:9], v[16:17]
	;; [unrolled: 5-line block ×7, first 2 shown]
	v_add_f64 v[192:193], v[4:5], v[2:3]
	s_clause 0x3
	buffer_load_dword v4, off, s[60:63], 0 offset:240
	buffer_load_dword v5, off, s[60:63], 0 offset:244
	;; [unrolled: 1-line block ×4, first 2 shown]
	s_waitcnt vmcnt(2)
	v_add_f64 v[2:3], v[194:195], v[4:5]
	v_add_f64 v[2:3], v[2:3], v[154:155]
	;; [unrolled: 1-line block ×10, first 2 shown]
	s_waitcnt vmcnt(0)
	v_add_f64 v[2:3], v[2:3], v[182:183]
	v_add_f64 v[2:3], v[2:3], v[54:55]
	;; [unrolled: 1-line block ×7, first 2 shown]
	s_clause 0x1
	buffer_load_dword v4, off, s[60:63], 0 offset:208
	buffer_load_dword v5, off, s[60:63], 0 offset:212
	v_add_f64 v[38:39], v[150:151], -v[140:141]
	s_clause 0x1
	buffer_load_dword v36, off, s[60:63], 0 offset:200
	buffer_load_dword v37, off, s[60:63], 0 offset:204
	s_waitcnt vmcnt(0) lgkmcnt(0)
	s_barrier
	buffer_gl0_inv
	v_add_f64 v[4:5], v[4:5], -v[136:137]
	v_mul_f64 v[6:7], v[4:5], s[6:7]
	v_mul_f64 v[10:11], v[4:5], s[26:27]
	;; [unrolled: 1-line block ×8, first 2 shown]
	v_fma_f64 v[8:9], v[2:3], s[4:5], v[6:7]
	v_fma_f64 v[6:7], v[2:3], s[4:5], -v[6:7]
	v_fma_f64 v[12:13], v[2:3], s[14:15], v[10:11]
	v_fma_f64 v[10:11], v[2:3], s[14:15], -v[10:11]
	;; [unrolled: 2-line block ×8, first 2 shown]
	v_add_f64 v[4:5], v[154:155], v[42:43]
	v_mul_f64 v[42:43], v[38:39], s[26:27]
	v_add_f64 v[8:9], v[194:195], v[8:9]
	v_add_f64 v[6:7], v[194:195], v[6:7]
	;; [unrolled: 1-line block ×16, first 2 shown]
	v_fma_f64 v[62:63], v[4:5], s[14:15], v[42:43]
	v_fma_f64 v[42:43], v[4:5], s[14:15], -v[42:43]
	v_add_f64 v[8:9], v[62:63], v[8:9]
	v_add_f64 v[6:7], v[42:43], v[6:7]
	v_mul_f64 v[42:43], v[38:39], s[38:39]
	v_fma_f64 v[62:63], v[4:5], s[16:17], v[42:43]
	v_fma_f64 v[42:43], v[4:5], s[16:17], -v[42:43]
	v_add_f64 v[12:13], v[62:63], v[12:13]
	v_add_f64 v[10:11], v[42:43], v[10:11]
	v_mul_f64 v[42:43], v[38:39], s[24:25]
	;; [unrolled: 5-line block ×6, first 2 shown]
	v_mul_f64 v[38:39], v[38:39], s[44:45]
	v_fma_f64 v[62:63], v[4:5], s[10:11], v[42:43]
	v_fma_f64 v[42:43], v[4:5], s[10:11], -v[42:43]
	v_add_f64 v[32:33], v[62:63], v[32:33]
	v_add_f64 v[30:31], v[42:43], v[30:31]
	v_fma_f64 v[42:43], v[4:5], s[4:5], v[38:39]
	v_fma_f64 v[4:5], v[4:5], s[4:5], -v[38:39]
	v_add_f64 v[38:39], v[130:131], -v[144:145]
	v_add_f64 v[34:35], v[42:43], v[34:35]
	v_add_f64 v[2:3], v[4:5], v[2:3]
	;; [unrolled: 1-line block ×3, first 2 shown]
	v_mul_f64 v[42:43], v[38:39], s[40:41]
	v_fma_f64 v[46:47], v[4:5], s[10:11], v[42:43]
	v_fma_f64 v[42:43], v[4:5], s[10:11], -v[42:43]
	v_add_f64 v[8:9], v[46:47], v[8:9]
	v_add_f64 v[6:7], v[42:43], v[6:7]
	v_mul_f64 v[42:43], v[38:39], s[24:25]
	v_fma_f64 v[46:47], v[4:5], s[22:23], v[42:43]
	v_fma_f64 v[42:43], v[4:5], s[22:23], -v[42:43]
	v_add_f64 v[12:13], v[46:47], v[12:13]
	v_add_f64 v[10:11], v[42:43], v[10:11]
	;; [unrolled: 5-line block ×6, first 2 shown]
	v_mul_f64 v[42:43], v[38:39], s[38:39]
	v_mul_f64 v[38:39], v[38:39], s[30:31]
	v_fma_f64 v[46:47], v[4:5], s[16:17], v[42:43]
	v_fma_f64 v[42:43], v[4:5], s[16:17], -v[42:43]
	v_add_f64 v[32:33], v[46:47], v[32:33]
	v_add_f64 v[30:31], v[42:43], v[30:31]
	v_fma_f64 v[42:43], v[4:5], s[28:29], v[38:39]
	v_fma_f64 v[4:5], v[4:5], s[28:29], -v[38:39]
	v_add_f64 v[38:39], v[44:45], -v[148:149]
	v_add_f64 v[34:35], v[42:43], v[34:35]
	v_add_f64 v[2:3], v[4:5], v[2:3]
	;; [unrolled: 1-line block ×3, first 2 shown]
	v_mul_f64 v[42:43], v[38:39], s[38:39]
	v_fma_f64 v[44:45], v[4:5], s[16:17], v[42:43]
	v_fma_f64 v[42:43], v[4:5], s[16:17], -v[42:43]
	v_add_f64 v[8:9], v[44:45], v[8:9]
	v_add_f64 v[6:7], v[42:43], v[6:7]
	v_mul_f64 v[42:43], v[38:39], s[36:37]
	v_fma_f64 v[44:45], v[4:5], s[34:35], v[42:43]
	v_fma_f64 v[42:43], v[4:5], s[34:35], -v[42:43]
	v_add_f64 v[12:13], v[44:45], v[12:13]
	v_add_f64 v[10:11], v[42:43], v[10:11]
	;; [unrolled: 5-line block ×6, first 2 shown]
	v_mul_f64 v[42:43], v[38:39], s[54:55]
	v_mul_f64 v[38:39], v[38:39], s[50:51]
	v_fma_f64 v[44:45], v[4:5], s[22:23], v[42:43]
	v_fma_f64 v[42:43], v[4:5], s[22:23], -v[42:43]
	v_add_f64 v[32:33], v[44:45], v[32:33]
	v_add_f64 v[30:31], v[42:43], v[30:31]
	v_fma_f64 v[42:43], v[4:5], s[14:15], v[38:39]
	v_fma_f64 v[4:5], v[4:5], s[14:15], -v[38:39]
	v_add_f64 v[38:39], v[36:37], -v[152:153]
	v_add_f64 v[36:37], v[48:49], -v[164:165]
	v_add_f64 v[34:35], v[42:43], v[34:35]
	v_add_f64 v[2:3], v[4:5], v[2:3]
	v_add_f64 v[4:5], v[176:177], v[54:55]
	v_mul_f64 v[42:43], v[38:39], s[20:21]
	v_add_nc_u32_e32 v54, 0x800, v244
	v_fma_f64 v[44:45], v[4:5], s[18:19], v[42:43]
	v_fma_f64 v[42:43], v[4:5], s[18:19], -v[42:43]
	v_add_f64 v[8:9], v[44:45], v[8:9]
	v_add_f64 v[6:7], v[42:43], v[6:7]
	v_mul_f64 v[42:43], v[38:39], s[48:49]
	v_fma_f64 v[44:45], v[4:5], s[28:29], v[42:43]
	v_fma_f64 v[42:43], v[4:5], s[28:29], -v[42:43]
	v_add_f64 v[12:13], v[44:45], v[12:13]
	v_add_f64 v[10:11], v[42:43], v[10:11]
	v_mul_f64 v[42:43], v[38:39], s[50:51]
	v_fma_f64 v[44:45], v[4:5], s[14:15], v[42:43]
	v_fma_f64 v[42:43], v[4:5], s[14:15], -v[42:43]
	v_add_f64 v[16:17], v[44:45], v[16:17]
	v_add_f64 v[14:15], v[42:43], v[14:15]
	v_mul_f64 v[42:43], v[38:39], s[40:41]
	v_fma_f64 v[44:45], v[4:5], s[10:11], v[42:43]
	v_fma_f64 v[42:43], v[4:5], s[10:11], -v[42:43]
	v_add_f64 v[20:21], v[44:45], v[20:21]
	v_add_f64 v[18:19], v[42:43], v[18:19]
	v_mul_f64 v[42:43], v[38:39], s[36:37]
	v_fma_f64 v[44:45], v[4:5], s[34:35], v[42:43]
	v_fma_f64 v[42:43], v[4:5], s[34:35], -v[42:43]
	v_add_f64 v[24:25], v[44:45], v[24:25]
	v_add_f64 v[22:23], v[42:43], v[22:23]
	v_mul_f64 v[42:43], v[38:39], s[56:57]
	v_fma_f64 v[44:45], v[4:5], s[16:17], v[42:43]
	v_fma_f64 v[42:43], v[4:5], s[16:17], -v[42:43]
	v_add_f64 v[28:29], v[44:45], v[28:29]
	v_add_f64 v[26:27], v[42:43], v[26:27]
	v_mul_f64 v[42:43], v[38:39], s[6:7]
	v_mul_f64 v[38:39], v[38:39], s[24:25]
	v_fma_f64 v[44:45], v[4:5], s[4:5], v[42:43]
	v_fma_f64 v[42:43], v[4:5], s[4:5], -v[42:43]
	v_add_f64 v[32:33], v[44:45], v[32:33]
	v_add_f64 v[30:31], v[42:43], v[30:31]
	v_fma_f64 v[42:43], v[4:5], s[22:23], v[38:39]
	v_fma_f64 v[4:5], v[4:5], s[22:23], -v[38:39]
	v_add_f64 v[38:39], v[142:143], -v[172:173]
	v_add_f64 v[34:35], v[42:43], v[34:35]
	v_add_f64 v[2:3], v[4:5], v[2:3]
	;; [unrolled: 1-line block ×3, first 2 shown]
	v_mul_f64 v[42:43], v[38:39], s[24:25]
	v_fma_f64 v[44:45], v[4:5], s[22:23], v[42:43]
	v_fma_f64 v[42:43], v[4:5], s[22:23], -v[42:43]
	v_add_f64 v[8:9], v[44:45], v[8:9]
	v_add_f64 v[6:7], v[42:43], v[6:7]
	v_mul_f64 v[42:43], v[38:39], s[46:47]
	v_fma_f64 v[44:45], v[4:5], s[18:19], v[42:43]
	v_fma_f64 v[42:43], v[4:5], s[18:19], -v[42:43]
	v_add_f64 v[12:13], v[44:45], v[12:13]
	v_add_f64 v[10:11], v[42:43], v[10:11]
	;; [unrolled: 5-line block ×6, first 2 shown]
	v_mul_f64 v[42:43], v[38:39], s[36:37]
	v_mul_f64 v[38:39], v[38:39], s[42:43]
	v_fma_f64 v[44:45], v[4:5], s[34:35], v[42:43]
	v_fma_f64 v[42:43], v[4:5], s[34:35], -v[42:43]
	v_add_f64 v[32:33], v[44:45], v[32:33]
	v_add_f64 v[30:31], v[42:43], v[30:31]
	v_fma_f64 v[42:43], v[4:5], s[10:11], v[38:39]
	v_fma_f64 v[4:5], v[4:5], s[10:11], -v[38:39]
	v_add_f64 v[38:39], v[100:101], -v[168:169]
	v_add_f64 v[34:35], v[42:43], v[34:35]
	v_add_f64 v[2:3], v[4:5], v[2:3]
	;; [unrolled: 1-line block ×3, first 2 shown]
	v_mul_f64 v[42:43], v[38:39], s[30:31]
	v_fma_f64 v[44:45], v[4:5], s[28:29], v[42:43]
	v_fma_f64 v[42:43], v[4:5], s[28:29], -v[42:43]
	v_add_f64 v[8:9], v[44:45], v[8:9]
	v_add_f64 v[6:7], v[42:43], v[6:7]
	v_mul_f64 v[42:43], v[38:39], s[42:43]
	v_fma_f64 v[44:45], v[4:5], s[10:11], v[42:43]
	v_fma_f64 v[42:43], v[4:5], s[10:11], -v[42:43]
	v_add_f64 v[12:13], v[44:45], v[12:13]
	v_add_f64 v[10:11], v[42:43], v[10:11]
	;; [unrolled: 5-line block ×6, first 2 shown]
	v_mul_f64 v[42:43], v[38:39], s[50:51]
	v_mul_f64 v[38:39], v[38:39], s[20:21]
	v_fma_f64 v[44:45], v[4:5], s[14:15], v[42:43]
	v_fma_f64 v[42:43], v[4:5], s[14:15], -v[42:43]
	v_add_f64 v[32:33], v[44:45], v[32:33]
	v_add_f64 v[30:31], v[42:43], v[30:31]
	v_fma_f64 v[42:43], v[4:5], s[18:19], v[38:39]
	v_fma_f64 v[4:5], v[4:5], s[18:19], -v[38:39]
	v_mul_f64 v[38:39], v[36:37], s[36:37]
	v_add_f64 v[34:35], v[42:43], v[34:35]
	v_add_f64 v[2:3], v[4:5], v[2:3]
	;; [unrolled: 1-line block ×3, first 2 shown]
	v_fma_f64 v[40:41], v[4:5], s[34:35], v[38:39]
	v_add_f64 v[176:177], v[40:41], v[8:9]
	v_fma_f64 v[8:9], v[4:5], s[34:35], -v[38:39]
	v_add_f64 v[136:137], v[8:9], v[6:7]
	v_mul_f64 v[6:7], v[36:37], s[44:45]
	v_fma_f64 v[8:9], v[4:5], s[4:5], v[6:7]
	v_fma_f64 v[6:7], v[4:5], s[4:5], -v[6:7]
	v_add_f64 v[168:169], v[8:9], v[12:13]
	v_add_f64 v[138:139], v[6:7], v[10:11]
	v_mul_f64 v[6:7], v[36:37], s[30:31]
	v_fma_f64 v[8:9], v[4:5], s[28:29], v[6:7]
	v_fma_f64 v[6:7], v[4:5], s[28:29], -v[6:7]
	v_add_f64 v[172:173], v[8:9], v[16:17]
	;; [unrolled: 5-line block ×7, first 2 shown]
	v_add_f64 v[152:153], v[4:5], v[2:3]
	buffer_load_dword v2, off, s[60:63], 0  ; 4-byte Folded Reload
	s_waitcnt vmcnt(0)
	ds_read_b64 v[124:125], v2
	ds_read2_b64 v[10:13], v244 offset0:119 offset1:136
	ds_read2_b64 v[2:5], v244 offset0:221 offset1:238
	;; [unrolled: 1-line block ×4, first 2 shown]
	buffer_load_dword v18, off, s[60:63], 0 offset:20 ; 4-byte Folded Reload
	s_waitcnt vmcnt(0)
	ds_read_b64 v[126:127], v18
	v_add_nc_u32_e32 v18, 0x400, v244
	ds_read2_b64 v[18:21], v18 offset0:127 offset1:144
	ds_read2_b64 v[22:25], v54 offset0:237 offset1:254
	buffer_load_dword v195, off, s[60:63], 0 offset:16 ; 4-byte Folded Reload
	s_waitcnt vmcnt(0)
	v_lshlrev_b32_e32 v26, 3, v195
	v_add3_u32 v182, 0, v26, v220
	ds_read_b64 v[128:129], v182
	ds_read2_b64 v[34:37], v244 offset0:153 offset1:170
	ds_read2_b64 v[30:33], v54 offset0:135 offset1:152
	buffer_load_dword v187, off, s[60:63], 0 offset:8 ; 4-byte Folded Reload
	s_waitcnt vmcnt(0)
	v_lshlrev_b32_e32 v26, 3, v187
	v_add3_u32 v183, 0, v26, v220
	ds_read_b64 v[132:133], v183
	ds_read2_b64 v[38:41], v54 offset0:33 offset1:50
	buffer_load_dword v194, off, s[60:63], 0 offset:12 ; 4-byte Folded Reload
	ds_read2_b64 v[42:45], v58 offset0:15 offset1:32
	s_waitcnt vmcnt(0)
	v_lshlrev_b32_e32 v26, 3, v194
	v_add3_u32 v186, 0, v26, v220
	ds_read_b64 v[134:135], v186
	ds_read2_b64 v[46:49], v244 offset0:187 offset1:204
	ds_read2_b64 v[50:53], v54 offset0:169 offset1:186
	;; [unrolled: 1-line block ×5, first 2 shown]
	s_waitcnt lgkmcnt(0)
	s_barrier
	buffer_gl0_inv
	ds_write2_b64 v82, v[180:181], v[200:201] offset1:7
	ds_write2_b64 v82, v[206:207], v[208:209] offset0:14 offset1:21
	ds_write2_b64 v82, v[202:203], v[204:205] offset0:28 offset1:35
	ds_write2_b64 v82, v[196:197], v[198:199] offset0:42 offset1:49
	ds_write2_b64 v82, v[190:191], v[192:193] offset0:56 offset1:63
	ds_write2_b64 v82, v[188:189], v[184:185] offset0:70 offset1:77
	ds_write2_b64 v82, v[178:179], v[174:175] offset0:84 offset1:91
	ds_write2_b64 v82, v[170:171], v[166:167] offset0:98 offset1:105
	ds_write_b64 v82, v[158:159] offset:896
	ds_write2_b64 v83, v[162:163], v[176:177] offset1:7
	ds_write2_b64 v83, v[168:169], v[172:173] offset0:14 offset1:21
	ds_write2_b64 v83, v[160:161], v[164:165] offset0:28 offset1:35
	;; [unrolled: 1-line block ×7, first 2 shown]
	ds_write_b64 v83, v[136:137] offset:896
	s_and_saveexec_b32 s33, s0
	s_cbranch_execz .LBB0_20
; %bb.19:
	v_add_f64 v[62:63], v[96:97], -v[86:87]
	s_mov_b32 s28, 0x5d8e7cdc
	s_mov_b32 s36, 0x2a9d6da3
	;; [unrolled: 1-line block ×12, first 2 shown]
	v_add_f64 v[78:79], v[210:211], v[84:85]
	s_mov_b32 s0, 0x370991
	s_mov_b32 s4, 0x75d4884
	s_mov_b32 s6, 0x2b2883cd
	s_mov_b32 s10, 0x3259b75e
	s_mov_b32 s14, 0xc61f0d01
	s_mov_b32 s16, 0x6ed5f1bb
	s_mov_b32 s18, 0x910ea3b9
	s_mov_b32 s22, 0x7faef3
	v_mul_f64 v[64:65], v[62:63], s[28:29]
	v_mul_f64 v[66:67], v[62:63], s[36:37]
	;; [unrolled: 1-line block ×8, first 2 shown]
	s_mov_b32 s1, 0x3fedd6d0
	s_mov_b32 s5, 0x3fe7a5f6
	;; [unrolled: 1-line block ×8, first 2 shown]
	v_mov_b32_e32 v173, v85
	v_mov_b32_e32 v172, v84
	v_add_f64 v[102:103], v[122:123], -v[112:113]
	v_mov_b32_e32 v177, v115
	v_mov_b32_e32 v176, v114
	v_mov_b32_e32 v157, v119
	v_fma_f64 v[80:81], v[78:79], s[0:1], v[64:65]
	v_fma_f64 v[64:65], v[78:79], s[0:1], -v[64:65]
	v_fma_f64 v[82:83], v[78:79], s[4:5], v[66:67]
	v_fma_f64 v[66:67], v[78:79], s[4:5], -v[66:67]
	;; [unrolled: 2-line block ×8, first 2 shown]
	v_add_f64 v[78:79], v[0:1], v[210:211]
	v_mov_b32_e32 v156, v118
	s_mov_b32 s53, 0x3fe0d888
	s_mov_b32 s49, 0x3feec746
	;; [unrolled: 1-line block ×4, first 2 shown]
	v_add_f64 v[80:81], v[0:1], v[80:81]
	v_add_f64 v[64:65], v[0:1], v[64:65]
	v_add_f64 v[82:83], v[0:1], v[82:83]
	v_add_f64 v[66:67], v[0:1], v[66:67]
	v_add_f64 v[84:85], v[0:1], v[84:85]
	v_add_f64 v[68:69], v[0:1], v[68:69]
	v_add_f64 v[86:87], v[0:1], v[86:87]
	v_add_f64 v[70:71], v[0:1], v[70:71]
	v_add_f64 v[88:89], v[0:1], v[88:89]
	v_add_f64 v[72:73], v[0:1], v[72:73]
	v_add_f64 v[92:93], v[0:1], v[92:93]
	v_add_f64 v[74:75], v[0:1], v[74:75]
	v_add_f64 v[94:95], v[0:1], v[94:95]
	v_add_f64 v[76:77], v[0:1], v[76:77]
	v_add_f64 v[96:97], v[0:1], v[96:97]
	v_add_f64 v[0:1], v[0:1], v[62:63]
	s_clause 0x3
	buffer_load_dword v62, off, s[60:63], 0 offset:160
	buffer_load_dword v63, off, s[60:63], 0 offset:164
	;; [unrolled: 1-line block ×4, first 2 shown]
	s_mov_b32 s52, s26
	s_mov_b32 s48, s20
	;; [unrolled: 1-line block ×8, first 2 shown]
	v_mov_b32_e32 v171, v109
	v_mov_b32_e32 v170, v108
	s_mov_b32 s51, 0x3fe9895b
	s_mov_b32 s50, s24
	s_waitcnt vmcnt(0)
	v_add_f64 v[62:63], v[98:99], -v[62:63]
	v_add_f64 v[98:99], v[104:105], -v[90:91]
	s_clause 0x3
	buffer_load_dword v90, off, s[60:63], 0 offset:88
	buffer_load_dword v91, off, s[60:63], 0 offset:92
	;; [unrolled: 1-line block ×4, first 2 shown]
	v_mul_f64 v[122:123], v[62:63], s[52:53]
	v_mul_f64 v[130:131], v[62:63], s[48:49]
	;; [unrolled: 1-line block ×3, first 2 shown]
	s_waitcnt vmcnt(0)
	v_add_f64 v[100:101], v[90:91], -v[100:101]
	s_clause 0x1
	buffer_load_dword v90, off, s[60:63], 0 offset:104
	buffer_load_dword v91, off, s[60:63], 0 offset:108
	s_waitcnt vmcnt(0)
	v_add_f64 v[104:105], v[90:91], -v[110:111]
	s_clause 0x5
	buffer_load_dword v90, off, s[60:63], 0 offset:120
	buffer_load_dword v91, off, s[60:63], 0 offset:124
	;; [unrolled: 1-line block ×6, first 2 shown]
	s_waitcnt vmcnt(4)
	v_add_f64 v[106:107], v[90:91], -v[120:121]
	s_clause 0x7
	buffer_load_dword v90, off, s[60:63], 0 offset:56
	buffer_load_dword v91, off, s[60:63], 0 offset:60
	;; [unrolled: 1-line block ×8, first 2 shown]
	s_waitcnt vmcnt(10)
	v_add_f64 v[78:79], v[78:79], v[110:111]
	v_add_f64 v[110:111], v[110:111], v[114:115]
	v_mul_f64 v[114:115], v[62:63], s[36:37]
	v_mul_f64 v[120:121], v[62:63], s[30:31]
	s_waitcnt vmcnt(8)
	v_add_f64 v[78:79], v[78:79], v[154:155]
	v_fma_f64 v[146:147], v[110:111], s[18:19], v[122:123]
	v_fma_f64 v[138:139], v[110:111], s[4:5], v[114:115]
	v_fma_f64 v[114:115], v[110:111], s[4:5], -v[114:115]
	v_fma_f64 v[144:145], v[110:111], s[22:23], v[120:121]
	v_fma_f64 v[120:121], v[110:111], s[22:23], -v[120:121]
	v_fma_f64 v[122:123], v[110:111], s[18:19], -v[122:123]
	v_fma_f64 v[148:149], v[110:111], s[14:15], v[130:131]
	v_fma_f64 v[130:131], v[110:111], s[14:15], -v[130:131]
	v_fma_f64 v[150:151], v[110:111], s[6:7], v[136:137]
	v_fma_f64 v[136:137], v[110:111], s[6:7], -v[136:137]
	v_add_f64 v[88:89], v[146:147], v[88:89]
	v_add_f64 v[80:81], v[138:139], v[80:81]
	;; [unrolled: 1-line block ×3, first 2 shown]
	s_clause 0x3
	buffer_load_dword v114, off, s[60:63], 0 offset:144
	buffer_load_dword v115, off, s[60:63], 0 offset:148
	;; [unrolled: 1-line block ×4, first 2 shown]
	v_add_f64 v[70:71], v[120:121], v[70:71]
	v_mul_f64 v[120:121], v[98:99], s[48:49]
	v_mul_f64 v[138:139], v[98:99], s[44:45]
	v_add_f64 v[86:87], v[144:145], v[86:87]
	v_add_f64 v[92:93], v[148:149], v[92:93]
	;; [unrolled: 1-line block ×5, first 2 shown]
	v_mul_f64 v[130:131], v[100:101], s[26:27]
	v_mul_f64 v[136:137], v[100:101], s[50:51]
	v_add_f64 v[72:73], v[122:123], v[72:73]
	v_mul_f64 v[122:123], v[100:101], s[38:39]
	s_waitcnt vmcnt(10)
	v_add_f64 v[78:79], v[78:79], v[90:91]
	s_waitcnt vmcnt(8)
	v_add_f64 v[78:79], v[78:79], v[174:175]
	v_add_f64 v[78:79], v[78:79], v[118:119]
	v_mul_f64 v[118:119], v[62:63], s[24:25]
	s_waitcnt vmcnt(6)
	v_add_f64 v[78:79], v[78:79], v[112:113]
	v_add_f64 v[112:113], v[112:113], v[116:117]
	v_fma_f64 v[142:143], v[110:111], s[16:17], v[118:119]
	v_fma_f64 v[118:119], v[110:111], s[16:17], -v[118:119]
	s_waitcnt vmcnt(4)
	v_add_f64 v[78:79], v[78:79], v[168:169]
	v_add_f64 v[84:85], v[142:143], v[84:85]
	;; [unrolled: 1-line block ×3, first 2 shown]
	v_mul_f64 v[118:119], v[98:99], s[46:47]
	v_mul_f64 v[142:143], v[98:99], s[34:35]
	s_mov_b32 s47, 0x3fefdd0d
	s_mov_b32 s46, s34
	v_add_f64 v[78:79], v[78:79], v[108:109]
	s_waitcnt vmcnt(0)
	v_add_f64 v[108:109], v[154:155], v[178:179]
	v_add_f64 v[78:79], v[78:79], v[116:117]
	v_mul_f64 v[116:117], v[62:63], s[34:35]
	v_mul_f64 v[62:63], v[62:63], s[42:43]
	v_fma_f64 v[158:159], v[108:109], s[14:15], v[120:121]
	v_fma_f64 v[120:121], v[108:109], s[14:15], -v[120:121]
	v_fma_f64 v[160:161], v[108:109], s[4:5], v[138:139]
	v_fma_f64 v[138:139], v[108:109], s[4:5], -v[138:139]
	;; [unrolled: 2-line block ×3, first 2 shown]
	v_add_f64 v[78:79], v[78:79], v[114:115]
	v_fma_f64 v[140:141], v[110:111], s[10:11], v[116:117]
	v_fma_f64 v[116:117], v[110:111], s[10:11], -v[116:117]
	v_fma_f64 v[152:153], v[110:111], s[0:1], v[62:63]
	v_fma_f64 v[62:63], v[110:111], s[0:1], -v[62:63]
	v_add_f64 v[110:111], v[156:157], v[114:115]
	v_mul_f64 v[114:115], v[98:99], s[38:39]
	v_fma_f64 v[156:157], v[108:109], s[22:23], v[118:119]
	v_fma_f64 v[118:119], v[108:109], s[22:23], -v[118:119]
	v_add_f64 v[70:71], v[120:121], v[70:71]
	v_mul_f64 v[120:121], v[100:101], s[42:43]
	v_add_f64 v[76:77], v[142:143], v[76:77]
	v_add_f64 v[72:73], v[138:139], v[72:73]
	v_add_f64 v[88:89], v[160:161], v[88:89]
	v_add_f64 v[94:95], v[164:165], v[94:95]
	v_add_f64 v[82:83], v[140:141], v[82:83]
	v_add_f64 v[66:67], v[116:117], v[66:67]
	v_mul_f64 v[116:117], v[98:99], s[24:25]
	v_mul_f64 v[140:141], v[98:99], s[28:29]
	;; [unrolled: 1-line block ×3, first 2 shown]
	v_fma_f64 v[144:145], v[108:109], s[6:7], v[114:115]
	v_fma_f64 v[114:115], v[108:109], s[6:7], -v[114:115]
	v_add_f64 v[0:1], v[62:63], v[0:1]
	v_add_f64 v[68:69], v[118:119], v[68:69]
	v_mul_f64 v[118:119], v[100:101], s[48:49]
	v_add_f64 v[96:97], v[152:153], v[96:97]
	v_fma_f64 v[154:155], v[108:109], s[16:17], v[116:117]
	v_fma_f64 v[116:117], v[108:109], s[16:17], -v[116:117]
	v_fma_f64 v[162:163], v[108:109], s[0:1], v[140:141]
	v_fma_f64 v[140:141], v[108:109], s[0:1], -v[140:141]
	;; [unrolled: 2-line block ×3, first 2 shown]
	s_clause 0x1
	buffer_load_dword v108, off, s[60:63], 0 offset:128
	buffer_load_dword v109, off, s[60:63], 0 offset:132
	v_add_f64 v[62:63], v[144:145], v[80:81]
	v_add_f64 v[64:65], v[114:115], v[64:65]
	v_mul_f64 v[114:115], v[100:101], s[34:35]
	v_add_f64 v[80:81], v[154:155], v[82:83]
	v_add_f64 v[82:83], v[156:157], v[84:85]
	;; [unrolled: 1-line block ×5, first 2 shown]
	v_mul_f64 v[116:117], v[100:101], s[30:31]
	v_mul_f64 v[100:101], v[100:101], s[44:45]
	v_add_f64 v[0:1], v[98:99], v[0:1]
	v_mul_f64 v[98:99], v[102:103], s[52:53]
	v_add_f64 v[96:97], v[166:167], v[96:97]
	v_add_f64 v[92:93], v[162:163], v[92:93]
	s_waitcnt vmcnt(0)
	v_add_f64 v[86:87], v[174:175], v[108:109]
	s_clause 0x1
	buffer_load_dword v174, off, s[60:63], 0 offset:136
	buffer_load_dword v175, off, s[60:63], 0 offset:140
	v_add_f64 v[78:79], v[78:79], v[108:109]
	v_fma_f64 v[140:141], v[86:87], s[18:19], v[98:99]
	v_fma_f64 v[98:99], v[86:87], s[18:19], -v[98:99]
	s_waitcnt vmcnt(0)
	v_add_f64 v[108:109], v[90:91], v[174:175]
	v_mul_f64 v[90:91], v[102:103], s[20:21]
	v_add_f64 v[78:79], v[78:79], v[174:175]
	v_fma_f64 v[148:149], v[108:109], s[14:15], v[118:119]
	v_fma_f64 v[118:119], v[108:109], s[14:15], -v[118:119]
	v_fma_f64 v[150:151], v[108:109], s[0:1], v[120:121]
	v_fma_f64 v[120:121], v[108:109], s[0:1], -v[120:121]
	;; [unrolled: 2-line block ×8, first 2 shown]
	v_mul_f64 v[108:109], v[102:103], s[44:45]
	v_fma_f64 v[138:139], v[86:87], s[14:15], v[90:91]
	v_fma_f64 v[90:91], v[86:87], s[14:15], -v[90:91]
	v_add_f64 v[78:79], v[78:79], v[178:179]
	v_add_f64 v[82:83], v[148:149], v[82:83]
	;; [unrolled: 1-line block ×3, first 2 shown]
	v_mul_f64 v[118:119], v[102:103], s[46:47]
	v_add_f64 v[70:71], v[120:121], v[70:71]
	v_mul_f64 v[120:121], v[102:103], s[28:29]
	v_add_f64 v[84:85], v[150:151], v[84:85]
	v_add_f64 v[74:75], v[130:131], v[74:75]
	;; [unrolled: 1-line block ×5, first 2 shown]
	v_mul_f64 v[114:115], v[102:103], s[38:39]
	v_add_f64 v[66:67], v[116:117], v[66:67]
	v_mul_f64 v[116:117], v[102:103], s[30:31]
	v_mul_f64 v[102:103], v[102:103], s[24:25]
	v_add_f64 v[80:81], v[146:147], v[80:81]
	v_add_f64 v[72:73], v[122:123], v[72:73]
	v_fma_f64 v[142:143], v[86:87], s[4:5], v[108:109]
	v_fma_f64 v[108:109], v[86:87], s[4:5], -v[108:109]
	v_add_f64 v[94:95], v[156:157], v[94:95]
	v_add_f64 v[96:97], v[158:159], v[96:97]
	;; [unrolled: 1-line block ×3, first 2 shown]
	v_mul_f64 v[100:101], v[104:105], s[28:29]
	v_mul_f64 v[122:123], v[104:105], s[30:31]
	v_add_f64 v[88:89], v[152:153], v[88:89]
	v_fma_f64 v[148:149], v[86:87], s[10:11], v[118:119]
	v_fma_f64 v[118:119], v[86:87], s[10:11], -v[118:119]
	v_fma_f64 v[150:151], v[86:87], s[0:1], v[120:121]
	v_fma_f64 v[120:121], v[86:87], s[0:1], -v[120:121]
	v_add_f64 v[92:93], v[154:155], v[92:93]
	v_add_f64 v[78:79], v[78:79], v[176:177]
	;; [unrolled: 1-line block ×4, first 2 shown]
	v_mul_f64 v[90:91], v[104:105], s[24:25]
	v_fma_f64 v[144:145], v[86:87], s[6:7], v[114:115]
	v_fma_f64 v[114:115], v[86:87], s[6:7], -v[114:115]
	v_fma_f64 v[146:147], v[86:87], s[22:23], v[116:117]
	v_fma_f64 v[116:117], v[86:87], s[22:23], -v[116:117]
	;; [unrolled: 2-line block ×3, first 2 shown]
	v_add_f64 v[66:67], v[98:99], v[66:67]
	v_add_f64 v[68:69], v[108:109], v[68:69]
	v_mul_f64 v[98:99], v[104:105], s[48:49]
	v_mul_f64 v[102:103], v[104:105], s[26:27]
	v_mul_f64 v[108:109], v[104:105], s[46:47]
	v_add_f64 v[80:81], v[140:141], v[80:81]
	v_add_f64 v[82:83], v[142:143], v[82:83]
	v_fma_f64 v[138:139], v[110:111], s[0:1], v[100:101]
	v_add_f64 v[74:75], v[118:119], v[74:75]
	v_fma_f64 v[100:101], v[110:111], s[0:1], -v[100:101]
	v_add_f64 v[76:77], v[120:121], v[76:77]
	s_clause 0x3
	buffer_load_dword v118, off, s[60:63], 0 offset:40
	buffer_load_dword v119, off, s[60:63], 0 offset:44
	;; [unrolled: 1-line block ×4, first 2 shown]
	v_fma_f64 v[152:153], v[110:111], s[22:23], v[122:123]
	v_fma_f64 v[122:123], v[110:111], s[22:23], -v[122:123]
	v_add_f64 v[94:95], v[150:151], v[94:95]
	v_fma_f64 v[130:131], v[110:111], s[16:17], v[90:91]
	v_fma_f64 v[90:91], v[110:111], s[16:17], -v[90:91]
	v_add_f64 v[70:71], v[114:115], v[70:71]
	v_mul_f64 v[114:115], v[104:105], s[36:37]
	v_mul_f64 v[104:105], v[104:105], s[40:41]
	v_add_f64 v[72:73], v[116:117], v[72:73]
	v_add_f64 v[84:85], v[144:145], v[84:85]
	v_add_f64 v[96:97], v[160:161], v[96:97]
	v_add_f64 v[0:1], v[86:87], v[0:1]
	v_fma_f64 v[136:137], v[110:111], s[14:15], v[98:99]
	v_fma_f64 v[98:99], v[110:111], s[14:15], -v[98:99]
	v_fma_f64 v[140:141], v[110:111], s[18:19], v[102:103]
	v_fma_f64 v[102:103], v[110:111], s[18:19], -v[102:103]
	;; [unrolled: 2-line block ×3, first 2 shown]
	v_mul_f64 v[86:87], v[106:107], s[26:27]
	v_mul_f64 v[116:117], v[106:107], s[30:31]
	v_add_f64 v[68:69], v[100:101], v[68:69]
	v_add_f64 v[92:93], v[148:149], v[92:93]
	;; [unrolled: 1-line block ×7, first 2 shown]
	v_mul_f64 v[90:91], v[106:107], s[40:41]
	v_fma_f64 v[144:145], v[110:111], s[4:5], v[114:115]
	v_fma_f64 v[114:115], v[110:111], s[4:5], -v[114:115]
	v_fma_f64 v[154:155], v[110:111], s[6:7], v[104:105]
	v_fma_f64 v[104:105], v[110:111], s[6:7], -v[104:105]
	v_add_f64 v[76:77], v[122:123], v[76:77]
	v_add_f64 v[78:79], v[78:79], v[172:173]
	;; [unrolled: 1-line block ×4, first 2 shown]
	v_mul_f64 v[98:99], v[106:107], s[34:35]
	v_add_f64 v[70:71], v[102:103], v[70:71]
	v_mul_f64 v[102:103], v[106:107], s[50:51]
	v_add_f64 v[72:73], v[108:109], v[72:73]
	v_mul_f64 v[108:109], v[106:107], s[28:29]
	v_fma_f64 v[100:101], v[112:113], s[18:19], v[86:87]
	v_add_f64 v[84:85], v[140:141], v[84:85]
	v_fma_f64 v[86:87], v[112:113], s[18:19], -v[86:87]
	v_add_f64 v[88:89], v[142:143], v[88:89]
	v_fma_f64 v[110:111], v[112:113], s[6:7], v[90:91]
	v_fma_f64 v[90:91], v[112:113], s[6:7], -v[90:91]
	v_add_f64 v[74:75], v[114:115], v[74:75]
	v_add_f64 v[96:97], v[154:155], v[96:97]
	;; [unrolled: 1-line block ×5, first 2 shown]
	v_fma_f64 v[114:115], v[112:113], s[10:11], v[98:99]
	v_fma_f64 v[98:99], v[112:113], s[10:11], -v[98:99]
	v_fma_f64 v[122:123], v[112:113], s[0:1], v[108:109]
	v_add_f64 v[62:63], v[100:101], v[62:63]
	v_fma_f64 v[100:101], v[112:113], s[16:17], v[102:103]
	v_fma_f64 v[102:103], v[112:113], s[16:17], -v[102:103]
	v_fma_f64 v[108:109], v[112:113], s[0:1], -v[108:109]
	v_add_f64 v[64:65], v[86:87], v[64:65]
	v_add_f64 v[80:81], v[110:111], v[80:81]
	;; [unrolled: 1-line block ×3, first 2 shown]
	v_fma_f64 v[110:111], v[112:113], s[22:23], v[116:117]
	v_fma_f64 v[116:117], v[112:113], s[22:23], -v[116:117]
	v_add_f64 v[82:83], v[114:115], v[82:83]
	v_add_f64 v[68:69], v[98:99], v[68:69]
	v_add_f64 v[88:89], v[122:123], v[88:89]
	v_add_f64 v[84:85], v[100:101], v[84:85]
	v_add_f64 v[70:71], v[102:103], v[70:71]
	v_add_f64 v[72:73], v[108:109], v[72:73]
	v_add_f64 v[92:93], v[110:111], v[92:93]
	v_add_f64 v[74:75], v[116:117], v[74:75]
	s_waitcnt vmcnt(0)
	v_add_f64 v[118:119], v[118:119], -v[120:121]
	v_mul_f64 v[120:121], v[106:107], s[44:45]
	v_mul_f64 v[106:107], v[106:107], s[20:21]
	v_mul_f64 v[136:137], v[118:119], s[30:31]
	v_fma_f64 v[90:91], v[112:113], s[4:5], v[120:121]
	v_fma_f64 v[130:131], v[112:113], s[14:15], v[106:107]
	v_mul_f64 v[138:139], v[118:119], s[42:43]
	v_mul_f64 v[114:115], v[118:119], s[26:27]
	v_fma_f64 v[120:121], v[112:113], s[4:5], -v[120:121]
	v_mul_f64 v[98:99], v[118:119], s[44:45]
	v_fma_f64 v[106:107], v[112:113], s[14:15], -v[106:107]
	v_mul_f64 v[112:113], v[118:119], s[24:25]
	v_mul_f64 v[140:141], v[118:119], s[40:41]
	;; [unrolled: 1-line block ×4, first 2 shown]
	v_fma_f64 v[86:87], v[104:105], s[22:23], -v[136:137]
	v_add_f64 v[90:91], v[90:91], v[94:95]
	v_add_f64 v[94:95], v[130:131], v[96:97]
	v_fma_f64 v[96:97], v[104:105], s[22:23], v[136:137]
	v_fma_f64 v[102:103], v[104:105], s[0:1], v[138:139]
	;; [unrolled: 1-line block ×3, first 2 shown]
	v_add_f64 v[76:77], v[120:121], v[76:77]
	v_fma_f64 v[116:117], v[104:105], s[4:5], v[98:99]
	v_fma_f64 v[120:121], v[104:105], s[16:17], v[112:113]
	v_fma_f64 v[108:109], v[104:105], s[0:1], -v[138:139]
	v_fma_f64 v[122:123], v[104:105], s[6:7], v[140:141]
	v_fma_f64 v[138:139], v[104:105], s[14:15], v[100:101]
	v_add_f64 v[0:1], v[106:107], v[0:1]
	v_fma_f64 v[106:107], v[104:105], s[10:11], v[118:119]
	v_fma_f64 v[118:119], v[104:105], s[10:11], -v[118:119]
	v_fma_f64 v[130:131], v[104:105], s[6:7], -v[140:141]
	;; [unrolled: 1-line block ×6, first 2 shown]
	v_add_f64 v[64:65], v[86:87], v[64:65]
	v_add_f64 v[62:63], v[96:97], v[62:63]
	buffer_load_dword v97, off, s[60:63], 0 offset:340 ; 4-byte Folded Reload
	v_add_f64 v[80:81], v[102:103], v[80:81]
	v_add_f64 v[82:83], v[110:111], v[82:83]
	;; [unrolled: 1-line block ×4, first 2 shown]
	v_mov_b32_e32 v96, 3
	v_add_f64 v[92:93], v[122:123], v[92:93]
	v_add_f64 v[90:91], v[138:139], v[90:91]
	;; [unrolled: 1-line block ×10, first 2 shown]
	s_waitcnt vmcnt(0)
	v_lshlrev_b32_sdwa v96, v96, v97 dst_sel:DWORD dst_unused:UNUSED_PAD src0_sel:DWORD src1_sel:BYTE_0
	v_add3_u32 v86, 0, v96, v220
	v_add_nc_u32_e32 v87, 0x800, v86
	v_add_nc_u32_e32 v96, 0x1000, v86
	ds_write2_b64 v87, v[78:79], v[62:63] offset0:220 offset1:227
	ds_write2_b64 v87, v[80:81], v[82:83] offset0:234 offset1:241
	;; [unrolled: 1-line block ×8, first 2 shown]
	ds_write_b64 v86, v[64:65] offset:4704
.LBB0_20:
	s_or_b32 exec_lo, exec_lo, s33
	s_waitcnt lgkmcnt(0)
	s_barrier
	buffer_gl0_inv
	s_and_saveexec_b32 s0, vcc_lo
	s_cbranch_execz .LBB0_22
; %bb.21:
	v_add_nc_u32_e32 v245, 0x66, v234
	v_mov_b32_e32 v1, 0
	v_add_nc_u32_e32 v246, 0x55, v234
	v_add_nc_u32_e32 v219, 0x1000, v244
	;; [unrolled: 1-line block ×3, first 2 shown]
	v_lshlrev_b32_e32 v0, 2, v245
	s_mov_b32 s11, 0x3fee6f0e
	s_mov_b32 s4, 0x4755a5e
	;; [unrolled: 1-line block ×4, first 2 shown]
	v_lshlrev_b64 v[62:63], 4, v[0:1]
	v_lshlrev_b32_e32 v0, 2, v246
	s_mov_b32 s6, s4
	s_mov_b32 s0, 0x372fe950
	;; [unrolled: 1-line block ×3, first 2 shown]
	v_lshlrev_b64 v[64:65], 4, v[0:1]
	v_add_co_u32 v106, vcc_lo, s8, v62
	v_lshlrev_b32_e32 v0, 2, v194
	v_add_co_ci_u32_e32 v107, vcc_lo, s9, v63, vcc_lo
	v_add_co_u32 v86, vcc_lo, s8, v64
	v_add_co_ci_u32_e32 v87, vcc_lo, s9, v65, vcc_lo
	v_lshlrev_b64 v[70:71], 4, v[0:1]
	v_lshlrev_b32_e32 v0, 2, v187
	s_clause 0x5
	global_load_dwordx4 v[66:69], v[106:107], off offset:1840
	global_load_dwordx4 v[62:65], v[86:87], off offset:1840
	;; [unrolled: 1-line block ×6, first 2 shown]
	v_lshlrev_b64 v[86:87], 4, v[0:1]
	v_add_co_u32 v110, vcc_lo, s8, v70
	v_add_co_ci_u32_e32 v111, vcc_lo, s9, v71, vcc_lo
	v_lshlrev_b32_e32 v0, 2, v195
	v_add_co_u32 v122, vcc_lo, s8, v86
	v_add_co_ci_u32_e32 v123, vcc_lo, s9, v87, vcc_lo
	s_clause 0x5
	global_load_dwordx4 v[70:73], v[110:111], off offset:1792
	global_load_dwordx4 v[98:101], v[110:111], off offset:1824
	;; [unrolled: 1-line block ×6, first 2 shown]
	v_lshlrev_b64 v[130:131], 4, v[0:1]
	s_clause 0x2
	global_load_dwordx4 v[110:113], v[110:111], off offset:1808
	global_load_dwordx4 v[114:117], v[122:123], off offset:1808
	;; [unrolled: 1-line block ×3, first 2 shown]
	buffer_load_dword v0, off, s[60:63], 0 offset:4 ; 4-byte Folded Reload
	v_add_co_u32 v130, vcc_lo, s8, v130
	v_add_co_ci_u32_e32 v131, vcc_lo, s9, v131, vcc_lo
	s_clause 0x4
	global_load_dwordx4 v[136:139], v[122:123], off offset:1824
	global_load_dwordx4 v[140:143], v[130:131], off offset:1808
	;; [unrolled: 1-line block ×5, first 2 shown]
	s_waitcnt vmcnt(18)
	v_mul_f64 v[180:181], v[56:57], v[84:85]
	s_waitcnt vmcnt(17)
	v_mul_f64 v[184:185], v[54:55], v[80:81]
	;; [unrolled: 2-line block ×4, first 2 shown]
	s_waitcnt vmcnt(5)
	v_lshlrev_b32_e32 v0, 2, v0
	v_lshlrev_b64 v[122:123], 4, v[0:1]
	v_lshlrev_b32_e32 v0, 2, v234
	v_lshlrev_b64 v[0:1], 4, v[0:1]
	v_add_co_u32 v122, vcc_lo, s8, v122
	v_add_co_ci_u32_e32 v123, vcc_lo, s9, v123, vcc_lo
	s_clause 0x3
	global_load_dwordx4 v[156:159], v[122:123], off offset:1808
	global_load_dwordx4 v[160:163], v[122:123], off offset:1792
	;; [unrolled: 1-line block ×4, first 2 shown]
	v_add_co_u32 v0, vcc_lo, s8, v0
	v_add_co_ci_u32_e32 v1, vcc_lo, s9, v1, vcc_lo
	s_clause 0x3
	global_load_dwordx4 v[172:175], v[0:1], off offset:1792
	global_load_dwordx4 v[176:179], v[0:1], off offset:1840
	;; [unrolled: 1-line block ×4, first 2 shown]
	ds_read2_b64 v[195:198], v219 offset0:49 offset1:66
	ds_read2_b64 v[199:202], v233 offset0:67 offset1:84
	;; [unrolled: 1-line block ×4, first 2 shown]
	v_mul_f64 v[0:1], v[60:61], v[68:69]
	v_mul_f64 v[122:123], v[58:59], v[64:65]
	ds_read2_b64 v[211:214], v244 offset0:85 offset1:102
	ds_read2_b64 v[215:218], v233 offset0:169 offset1:186
	ds_read_b64 v[225:226], v186
	ds_read2_b64 v[219:222], v219 offset0:15 offset1:32
	v_add_nc_u32_e32 v186, 0x400, v244
	s_mov_b32 s8, 0x134454ff
	s_mov_b32 s9, 0xbfee6f0e
	;; [unrolled: 1-line block ×3, first 2 shown]
	s_waitcnt lgkmcnt(6)
	v_mul_f64 v[84:85], v[201:202], v[84:85]
	v_mul_f64 v[68:69], v[197:198], v[68:69]
	;; [unrolled: 1-line block ×3, first 2 shown]
	s_waitcnt lgkmcnt(4)
	v_mul_f64 v[76:77], v[209:210], v[76:77]
	v_mul_f64 v[223:224], v[199:200], v[80:81]
	v_fma_f64 v[0:1], v[197:198], v[66:67], v[0:1]
	v_fma_f64 v[122:123], v[195:196], v[62:63], v[122:123]
	v_mul_f64 v[88:89], v[203:204], v[88:89]
	v_fma_f64 v[203:204], v[203:204], v[86:87], v[231:232]
	v_fma_f64 v[56:57], v[56:57], v[82:83], -v[84:85]
	v_fma_f64 v[229:230], v[60:61], v[66:67], -v[68:69]
	ds_read2_b64 v[64:67], v244 offset0:153 offset1:170
	v_fma_f64 v[62:63], v[58:59], v[62:63], -v[130:131]
	ds_read2_b64 v[58:61], v244 offset0:119 offset1:136
	ds_read2_b64 v[195:198], v233 offset0:203 offset1:220
	v_fma_f64 v[130:131], v[201:202], v[82:83], v[180:181]
	ds_read2_b64 v[80:83], v233 offset0:33 offset1:50
	v_fma_f64 v[201:202], v[209:210], v[74:75], v[227:228]
	v_fma_f64 v[74:75], v[48:49], v[74:75], -v[76:77]
	ds_read_b64 v[76:77], v183
	ds_read_b64 v[182:183], v182
	buffer_load_dword v48, off, s[60:63], 0 offset:20 ; 4-byte Folded Reload
	v_fma_f64 v[84:85], v[199:200], v[78:79], v[184:185]
	v_mul_f64 v[180:181], v[52:53], v[104:105]
	s_waitcnt lgkmcnt(8)
	v_mul_f64 v[104:105], v[217:218], v[104:105]
	v_mul_f64 v[184:185], v[50:51], v[100:101]
	;; [unrolled: 1-line block ×7, first 2 shown]
	s_waitcnt lgkmcnt(6)
	v_mul_f64 v[92:93], v[219:220], v[92:93]
	v_fma_f64 v[78:79], v[54:55], v[78:79], -v[223:224]
	v_fma_f64 v[2:3], v[2:3], v[86:87], -v[88:89]
	s_waitcnt vmcnt(11)
	v_mul_f64 v[86:87], v[34:35], v[146:147]
	v_mul_f64 v[96:97], v[221:222], v[96:97]
	s_waitcnt vmcnt(10)
	v_mul_f64 v[88:89], v[30:31], v[150:151]
	v_fma_f64 v[180:181], v[217:218], v[102:103], v[180:181]
	v_fma_f64 v[102:103], v[52:53], v[102:103], -v[104:105]
	v_fma_f64 v[104:105], v[215:216], v[98:99], v[184:185]
	v_mul_f64 v[184:185], v[14:15], v[108:109]
	v_fma_f64 v[50:51], v[50:51], v[98:99], -v[100:101]
	v_mul_f64 v[98:99], v[40:41], v[112:113]
	s_waitcnt lgkmcnt(2)
	v_mul_f64 v[100:101], v[82:83], v[112:113]
	v_fma_f64 v[112:113], v[221:222], v[94:95], v[199:200]
	v_mul_f64 v[199:200], v[38:39], v[116:117]
	v_mul_f64 v[116:117], v[80:81], v[116:117]
	v_fma_f64 v[72:73], v[46:47], v[70:71], -v[72:73]
	v_mul_f64 v[108:109], v[195:196], v[108:109]
	v_mul_f64 v[217:218], v[36:37], v[120:121]
	v_fma_f64 v[42:43], v[42:43], v[90:91], -v[92:93]
	v_mul_f64 v[92:93], v[66:67], v[120:121]
	ds_read2_b64 v[52:55], v186 offset0:127 offset1:144
	v_fma_f64 v[215:216], v[219:220], v[90:91], v[227:228]
	v_mul_f64 v[90:91], v[32:33], v[138:139]
	v_fma_f64 v[207:208], v[207:208], v[70:71], v[68:69]
	ds_read2_b64 v[68:71], v233 offset0:237 offset1:254
	v_fma_f64 v[44:45], v[44:45], v[94:95], -v[96:97]
	ds_read2_b64 v[94:97], v233 offset0:101 offset1:118
	v_fma_f64 v[184:185], v[195:196], v[106:107], v[184:185]
	v_add_f64 v[195:196], v[84:85], -v[180:181]
	v_fma_f64 v[82:83], v[82:83], v[110:111], v[98:99]
	v_fma_f64 v[40:41], v[40:41], v[110:111], -v[100:101]
	v_fma_f64 v[80:81], v[80:81], v[114:115], v[199:200]
	v_fma_f64 v[38:39], v[38:39], v[114:115], -v[116:117]
	v_add_f64 v[199:200], v[201:202], -v[122:123]
	v_fma_f64 v[14:15], v[14:15], v[106:107], -v[108:109]
	v_mul_f64 v[108:109], v[64:65], v[146:147]
	s_waitcnt lgkmcnt(2)
	v_mul_f64 v[100:101], v[54:55], v[142:143]
	v_fma_f64 v[66:67], v[66:67], v[118:119], v[217:218]
	v_fma_f64 v[36:37], v[36:37], v[118:119], -v[92:93]
	v_fma_f64 v[64:65], v[64:65], v[144:145], v[86:87]
	s_waitcnt vmcnt(9)
	v_mul_f64 v[106:107], v[24:25], v[154:155]
	s_waitcnt lgkmcnt(1)
	v_mul_f64 v[98:99], v[70:71], v[154:155]
	v_add_f64 v[221:222], v[40:41], -v[72:73]
	v_fma_f64 v[34:35], v[34:35], v[144:145], -v[108:109]
	v_add_f64 v[144:145], v[203:204], v[213:214]
	v_fma_f64 v[106:107], v[70:71], v[152:153], v[106:107]
	v_fma_f64 v[108:109], v[24:25], v[152:153], -v[98:99]
	v_add_f64 v[70:71], v[2:3], -v[229:230]
	v_fma_f64 v[24:25], v[20:21], v[140:141], -v[100:101]
	v_add_f64 v[100:101], v[56:57], -v[14:15]
	v_add_f64 v[152:153], v[14:15], -v[229:230]
	s_waitcnt vmcnt(8)
	v_mul_f64 v[118:119], v[52:53], v[158:159]
	s_waitcnt vmcnt(7)
	v_mul_f64 v[114:115], v[12:13], v[162:163]
	;; [unrolled: 2-line block ×4, first 2 shown]
	v_mul_f64 v[92:93], v[68:69], v[170:171]
	v_add_f64 v[170:171], v[2:3], -v[56:57]
	s_waitcnt vmcnt(3)
	v_mul_f64 v[86:87], v[16:17], v[178:179]
	v_mul_f64 v[154:155], v[197:198], v[178:179]
	v_fma_f64 v[118:119], v[18:19], v[156:157], -v[118:119]
	v_fma_f64 v[114:115], v[60:61], v[160:161], v[114:115]
	s_waitcnt lgkmcnt(0)
	v_fma_f64 v[178:179], v[96:97], v[164:165], v[116:117]
	v_fma_f64 v[146:147], v[68:69], v[168:169], v[146:147]
	v_add_f64 v[68:69], v[134:135], v[72:73]
	v_add_f64 v[116:117], v[130:131], v[144:145]
	;; [unrolled: 1-line block ×3, first 2 shown]
	v_fma_f64 v[197:198], v[197:198], v[176:177], v[86:87]
	v_add_f64 v[86:87], v[132:133], v[36:37]
	v_fma_f64 v[16:17], v[16:17], v[176:177], -v[154:155]
	v_add_f64 v[68:69], v[40:41], v[68:69]
	v_add_f64 v[116:117], v[184:185], v[116:117]
	v_fma_f64 v[144:145], v[144:145], -0.5, v[211:212]
	s_waitcnt vmcnt(0)
	ds_read_b64 v[209:210], v48
	buffer_load_dword v48, off, s[60:63], 0 ; 4-byte Folded Reload
	v_add_f64 v[68:69], v[68:69], v[50:51]
	s_waitcnt vmcnt(0)
	ds_read_b64 v[223:224], v48
	ds_read2_b64 v[46:49], v233 offset0:135 offset1:152
	s_waitcnt lgkmcnt(0)
	v_mul_f64 v[120:121], v[48:49], v[138:139]
	v_mul_f64 v[138:139], v[20:21], v[142:143]
	;; [unrolled: 1-line block ×5, first 2 shown]
	v_add_f64 v[60:61], v[201:202], v[211:212]
	v_fma_f64 v[90:91], v[48:49], v[136:137], v[90:91]
	v_mul_f64 v[48:49], v[96:97], v[166:167]
	v_fma_f64 v[88:89], v[46:47], v[148:149], v[88:89]
	v_add_f64 v[46:47], v[203:204], v[0:1]
	v_add_f64 v[162:163], v[2:3], v[229:230]
	v_add_f64 v[20:21], v[130:131], -v[203:204]
	v_add_f64 v[158:159], v[130:131], -v[184:185]
	;; [unrolled: 1-line block ×5, first 2 shown]
	v_fma_f64 v[32:33], v[32:33], v[136:137], -v[120:121]
	v_mul_f64 v[120:121], v[10:11], v[174:175]
	v_mul_f64 v[136:137], v[58:59], v[174:175]
	v_fma_f64 v[142:143], v[52:53], v[156:157], v[142:143]
	v_add_f64 v[52:53], v[28:29], v[2:3]
	v_fma_f64 v[150:151], v[12:13], v[160:161], -v[150:151]
	v_add_f64 v[12:13], v[26:27], v[74:75]
	v_add_f64 v[60:61], v[84:85], v[60:61]
	v_fma_f64 v[98:99], v[30:31], v[148:149], -v[110:111]
	v_add_f64 v[148:149], v[56:57], -v[2:3]
	v_add_f64 v[2:3], v[56:57], v[14:15]
	v_fma_f64 v[156:157], v[8:9], v[164:165], -v[48:49]
	v_add_f64 v[48:49], v[207:208], v[225:226]
	v_fma_f64 v[217:218], v[46:47], -0.5, v[213:214]
	v_fma_f64 v[54:55], v[54:55], v[140:141], v[138:139]
	v_add_f64 v[110:111], v[203:204], -v[130:131]
	v_add_f64 v[138:139], v[0:1], -v[184:185]
	v_add_f64 v[140:141], v[130:131], v[184:185]
	v_add_f64 v[174:175], v[229:230], -v[14:15]
	v_fma_f64 v[160:161], v[22:23], v[168:169], -v[92:93]
	v_add_f64 v[8:9], v[84:85], -v[201:202]
	v_add_f64 v[22:23], v[74:75], -v[62:63]
	v_add_f64 v[92:93], v[201:202], v[122:123]
	v_fma_f64 v[120:121], v[58:59], v[172:173], v[120:121]
	v_add_f64 v[58:59], v[66:67], v[76:77]
	v_add_f64 v[130:131], v[201:202], -v[84:85]
	v_add_f64 v[52:53], v[56:57], v[52:53]
	v_add_f64 v[56:57], v[122:123], -v[180:181]
	v_add_f64 v[12:13], v[78:79], v[12:13]
	v_add_f64 v[46:47], v[180:181], v[60:61]
	;; [unrolled: 1-line block ×3, first 2 shown]
	v_add_f64 v[164:165], v[78:79], -v[74:75]
	v_add_f64 v[84:85], v[74:75], v[62:63]
	v_add_f64 v[74:75], v[74:75], -v[78:79]
	v_add_f64 v[48:49], v[82:83], v[48:49]
	v_add_f64 v[78:79], v[78:79], v[102:103]
	v_fma_f64 v[162:163], v[162:163], -0.5, v[28:29]
	v_fma_f64 v[219:220], v[2:3], -0.5, v[28:29]
	v_add_f64 v[30:31], v[184:185], -v[0:1]
	v_add_f64 v[168:169], v[102:103], -v[62:63]
	;; [unrolled: 1-line block ×3, first 2 shown]
	v_fma_f64 v[140:141], v[140:141], -0.5, v[213:214]
	v_add_f64 v[213:214], v[40:41], -v[50:51]
	v_add_f64 v[2:3], v[0:1], v[116:117]
	v_add_f64 v[110:111], v[110:111], v[138:139]
	v_add_f64 v[138:139], v[148:149], v[152:153]
	v_add_f64 v[58:59], v[80:81], v[58:59]
	v_add_f64 v[148:149], v[38:39], -v[36:37]
	v_add_f64 v[14:15], v[52:53], v[14:15]
	v_add_f64 v[52:53], v[72:73], -v[44:45]
	v_add_f64 v[12:13], v[12:13], v[102:103]
	v_add_f64 v[28:29], v[122:123], v[46:47]
	;; [unrolled: 1-line block ×4, first 2 shown]
	v_fma_f64 v[84:85], v[84:85], -0.5, v[26:27]
	v_add_f64 v[68:69], v[38:39], -v[32:33]
	v_add_f64 v[48:49], v[104:105], v[48:49]
	v_fma_f64 v[78:79], v[78:79], -0.5, v[26:27]
	v_add_f64 v[152:153], v[170:171], v[174:175]
	v_add_f64 v[170:171], v[32:33], -v[42:43]
	v_add_f64 v[8:9], v[8:9], v[18:19]
	v_add_f64 v[18:19], v[36:37], v[42:43]
	v_add_f64 v[203:204], v[82:83], -v[207:208]
	v_add_f64 v[184:185], v[104:105], -v[112:113]
	v_fma_f64 v[92:93], v[92:93], -0.5, v[211:212]
	v_add_f64 v[211:212], v[207:208], v[112:113]
	v_add_f64 v[180:181], v[207:208], -v[82:83]
	v_add_f64 v[102:103], v[112:113], -v[104:105]
	v_add_f64 v[58:59], v[90:91], v[58:59]
	v_add_f64 v[86:87], v[82:83], v[104:105]
	;; [unrolled: 1-line block ×4, first 2 shown]
	v_add_f64 v[72:73], v[72:73], -v[40:41]
	v_add_f64 v[40:41], v[40:41], v[50:51]
	v_add_f64 v[26:27], v[12:13], v[62:63]
	v_add_f64 v[62:63], v[36:37], -v[42:43]
	v_add_f64 v[36:37], v[36:37], -v[38:39]
	v_add_f64 v[38:39], v[38:39], v[32:33]
	v_add_f64 v[32:33], v[42:43], -v[32:33]
	v_add_f64 v[82:83], v[82:83], -v[104:105]
	;; [unrolled: 1-line block ×7, first 2 shown]
	v_add_f64 v[48:49], v[112:113], v[48:49]
	v_add_f64 v[44:45], v[66:67], v[215:216]
	;; [unrolled: 1-line block ×3, first 2 shown]
	v_add_f64 v[30:31], v[66:67], -v[80:81]
	v_add_f64 v[112:113], v[80:81], v[90:91]
	v_add_f64 v[60:61], v[215:216], v[58:59]
	;; [unrolled: 1-line block ×3, first 2 shown]
	v_fma_f64 v[42:43], v[158:159], s[10:11], v[162:163]
	v_add_f64 v[80:81], v[80:81], -v[90:91]
	v_add_f64 v[90:91], v[215:216], -v[90:91]
	;; [unrolled: 1-line block ×3, first 2 shown]
	v_add_f64 v[56:57], v[130:131], v[56:57]
	v_fma_f64 v[130:131], v[100:101], s[8:9], v[217:218]
	v_fma_f64 v[174:175], v[100:101], s[10:11], v[217:218]
	;; [unrolled: 1-line block ×3, first 2 shown]
	v_fma_f64 v[215:216], v[14:15], -0.5, v[134:135]
	v_fma_f64 v[134:135], v[40:41], -0.5, v[134:135]
	v_add_f64 v[184:185], v[203:204], v[184:185]
	v_add_f64 v[102:103], v[180:181], v[102:103]
	v_add_f64 v[180:181], v[54:55], -v[64:65]
	v_add_f64 v[203:204], v[88:89], -v[106:107]
	v_add_f64 v[207:208], v[72:73], v[207:208]
	v_add_f64 v[72:73], v[64:65], v[106:107]
	v_fma_f64 v[217:218], v[44:45], -0.5, v[76:77]
	v_add_f64 v[44:45], v[64:65], v[182:183]
	v_add_f64 v[164:165], v[164:165], v[168:169]
	v_fma_f64 v[76:77], v[112:113], -0.5, v[76:77]
	v_add_f64 v[112:113], v[148:149], v[170:171]
	v_add_f64 v[170:171], v[36:37], v[32:33]
	v_fma_f64 v[40:41], v[166:167], s[6:7], v[42:43]
	v_add_f64 v[42:43], v[64:65], -v[54:55]
	v_add_f64 v[90:91], v[30:31], v[90:91]
	v_add_f64 v[30:31], v[54:55], v[88:89]
	v_fma_f64 v[32:33], v[70:71], s[10:11], v[140:141]
	v_fma_f64 v[14:15], v[70:71], s[4:5], v[130:131]
	;; [unrolled: 1-line block ×4, first 2 shown]
	v_add_f64 v[174:175], v[50:51], v[12:13]
	v_add_f64 v[50:51], v[106:107], -v[88:89]
	v_fma_f64 v[36:37], v[70:71], s[8:9], v[140:141]
	v_fma_f64 v[70:71], v[166:167], s[8:9], v[219:220]
	;; [unrolled: 1-line block ×3, first 2 shown]
	v_fma_f64 v[219:220], v[18:19], -0.5, v[132:133]
	v_fma_f64 v[132:133], v[38:39], -0.5, v[132:133]
	v_fma_f64 v[38:39], v[96:97], s[8:9], v[92:93]
	v_fma_f64 v[92:93], v[96:97], s[10:11], v[92:93]
	v_add_f64 v[74:75], v[74:75], v[201:202]
	v_fma_f64 v[201:202], v[211:212], -0.5, v[225:226]
	v_fma_f64 v[86:87], v[86:87], -0.5, v[225:226]
	v_add_f64 v[211:212], v[34:35], -v[108:109]
	v_add_f64 v[148:149], v[24:25], -v[34:35]
	v_fma_f64 v[12:13], v[138:139], s[0:1], v[40:41]
	v_fma_f64 v[40:41], v[195:196], s[10:11], v[84:85]
	;; [unrolled: 1-line block ×8, first 2 shown]
	v_add_f64 v[130:131], v[34:35], v[108:109]
	v_add_f64 v[138:139], v[180:181], v[203:204]
	;; [unrolled: 1-line block ×5, first 2 shown]
	v_fma_f64 v[50:51], v[72:73], -0.5, v[182:183]
	v_fma_f64 v[72:73], v[30:31], -0.5, v[182:183]
	v_fma_f64 v[30:31], v[100:101], s[4:5], v[32:33]
	v_fma_f64 v[32:33], v[100:101], s[6:7], v[36:37]
	v_add_f64 v[203:204], v[54:55], -v[88:89]
	v_fma_f64 v[36:37], v[158:159], s[6:7], v[70:71]
	v_fma_f64 v[70:71], v[158:159], s[4:5], v[140:141]
	v_add_f64 v[158:159], v[34:35], -v[24:25]
	v_add_f64 v[34:35], v[54:55], v[44:45]
	v_fma_f64 v[38:39], v[22:23], s[4:5], v[38:39]
	v_fma_f64 v[44:45], v[199:200], s[6:7], v[40:41]
	v_fma_f64 v[54:55], v[22:23], s[6:7], v[92:93]
	v_add_f64 v[182:183], v[24:25], -v[98:99]
	v_add_f64 v[100:101], v[114:115], v[146:147]
	v_add_f64 v[140:141], v[64:65], -v[106:107]
	v_fma_f64 v[64:65], v[199:200], s[4:5], v[84:85]
	v_fma_f64 v[199:200], v[195:196], s[6:7], v[225:226]
	v_fma_f64 v[84:85], v[130:131], -0.5, v[128:129]
	v_fma_f64 v[78:79], v[195:196], s[4:5], v[78:79]
	v_fma_f64 v[92:93], v[162:163], -0.5, v[128:129]
	v_fma_f64 v[162:163], v[22:23], s[10:11], v[144:145]
	v_add_f64 v[130:131], v[24:25], v[42:43]
	v_fma_f64 v[144:145], v[22:23], s[8:9], v[144:145]
	v_add_f64 v[128:129], v[118:119], -v[156:157]
	v_fma_f64 v[24:25], v[110:111], s[0:1], v[30:31]
	v_fma_f64 v[32:33], v[110:111], s[0:1], v[32:33]
	;; [unrolled: 1-line block ×12, first 2 shown]
	v_add_f64 v[36:37], v[142:143], v[178:179]
	v_fma_f64 v[100:101], v[100:101], -0.5, v[209:210]
	v_fma_f64 v[70:71], v[213:214], s[8:9], v[201:202]
	v_fma_f64 v[42:43], v[164:165], s[0:1], v[64:65]
	;; [unrolled: 1-line block ×4, first 2 shown]
	v_add_f64 v[164:165], v[88:89], v[34:35]
	v_fma_f64 v[88:89], v[68:69], s[10:11], v[217:218]
	v_fma_f64 v[162:163], v[96:97], s[4:5], v[162:163]
	;; [unrolled: 1-line block ×7, first 2 shown]
	v_mul_f64 v[122:123], v[4:5], v[189:190]
	v_fma_f64 v[152:153], v[213:214], s[4:5], v[152:153]
	v_fma_f64 v[86:87], v[213:214], s[6:7], v[86:87]
	;; [unrolled: 1-line block ×4, first 2 shown]
	v_mul_f64 v[168:169], v[6:7], v[193:194]
	v_fma_f64 v[8:9], v[116:117], s[6:7], v[8:9]
	v_fma_f64 v[54:55], v[116:117], s[4:5], v[54:55]
	v_fma_f64 v[116:117], v[211:212], s[10:11], v[72:73]
	v_fma_f64 v[72:73], v[211:212], s[8:9], v[72:73]
	v_mul_f64 v[189:190], v[205:206], v[189:190]
	v_mul_f64 v[193:194], v[94:95], v[193:194]
	v_add_f64 v[104:105], v[221:222], v[104:105]
	v_add_f64 v[221:222], v[108:109], -v[98:99]
	v_fma_f64 v[34:35], v[68:69], s[8:9], v[217:218]
	v_fma_f64 v[70:71], v[52:53], s[4:5], v[70:71]
	;; [unrolled: 1-line block ×8, first 2 shown]
	v_add_f64 v[219:220], v[150:151], -v[160:161]
	v_fma_f64 v[144:145], v[68:69], s[4:5], v[144:145]
	v_fma_f64 v[225:226], v[68:69], s[6:7], v[76:77]
	v_fma_f64 v[229:230], v[36:37], -0.5, v[209:210]
	v_fma_f64 v[195:196], v[66:67], s[6:7], v[195:196]
	v_fma_f64 v[201:202], v[66:67], s[4:5], v[201:202]
	;; [unrolled: 1-line block ×12, first 2 shown]
	v_add_f64 v[166:167], v[98:99], -v[108:109]
	v_fma_f64 v[217:218], v[62:63], s[4:5], v[34:35]
	v_add_f64 v[227:228], v[114:115], -v[142:143]
	v_fma_f64 v[237:238], v[80:81], s[6:7], v[52:53]
	v_fma_f64 v[132:133], v[80:81], s[4:5], v[132:133]
	;; [unrolled: 1-line block ×21, first 2 shown]
	v_add_f64 v[90:91], v[146:147], -v[178:179]
	v_fma_f64 v[102:103], v[219:220], s[10:11], v[229:230]
	v_fma_f64 v[110:111], v[140:141], s[6:7], v[231:232]
	;; [unrolled: 1-line block ×3, first 2 shown]
	v_add_f64 v[116:117], v[158:159], v[221:222]
	v_fma_f64 v[10:11], v[10:11], v[172:173], -v[136:137]
	v_fma_f64 v[138:139], v[203:204], s[6:7], v[239:240]
	v_fma_f64 v[4:5], v[4:5], v[187:188], -v[189:190]
	v_fma_f64 v[140:141], v[6:7], v[191:192], -v[193:194]
	v_add_f64 v[148:149], v[148:149], v[166:167]
	v_add_f64 v[166:167], v[142:143], -v[114:115]
	v_add_f64 v[134:135], v[178:179], -v[146:147]
	v_fma_f64 v[66:67], v[104:105], s[0:1], v[54:55]
	v_fma_f64 v[76:77], v[174:175], s[0:1], v[217:218]
	;; [unrolled: 1-line block ×4, first 2 shown]
	v_add_f64 v[94:95], v[114:115], v[209:210]
	v_add_f64 v[136:137], v[150:151], v[160:161]
	v_fma_f64 v[144:145], v[203:204], s[4:5], v[241:242]
	v_add_f64 v[130:131], v[130:131], v[98:99]
	v_add_f64 v[152:153], v[118:119], v[156:157]
	;; [unrolled: 1-line block ×4, first 2 shown]
	v_fma_f64 v[164:165], v[128:129], s[4:5], v[102:103]
	v_fma_f64 v[78:79], v[170:171], s[0:1], v[237:238]
	;; [unrolled: 1-line block ×4, first 2 shown]
	v_add_f64 v[174:175], v[10:11], v[16:17]
	v_fma_f64 v[90:91], v[116:117], s[0:1], v[138:139]
	v_fma_f64 v[106:107], v[219:220], s[6:7], v[243:244]
	v_add_f64 v[138:139], v[4:5], v[140:141]
	v_add_f64 v[158:159], v[120:121], v[197:198]
	v_add_f64 v[170:171], v[118:119], -v[150:151]
	v_add_f64 v[134:135], v[166:167], v[134:135]
	v_fma_f64 v[166:167], v[219:220], s[8:9], v[229:230]
	v_add_f64 v[172:173], v[156:157], -v[160:161]
	v_add_f64 v[114:115], v[114:115], -v[146:147]
	v_fma_f64 v[6:7], v[148:149], s[0:1], v[110:111]
	v_add_f64 v[168:169], v[142:143], v[94:95]
	v_add_f64 v[142:143], v[142:143], -v[178:179]
	v_fma_f64 v[136:137], v[136:137], -0.5, v[126:127]
	v_fma_f64 v[98:99], v[116:117], s[0:1], v[144:145]
	v_add_f64 v[102:103], v[130:131], v[108:109]
	v_fma_f64 v[130:131], v[152:153], -0.5, v[126:127]
	v_add_f64 v[126:127], v[126:127], v[150:151]
	v_fma_f64 v[116:117], v[162:163], s[0:1], v[164:165]
	v_add_f64 v[152:153], v[120:121], v[223:224]
	v_add_f64 v[110:111], v[122:123], v[132:133]
	v_fma_f64 v[94:95], v[148:149], s[0:1], v[112:113]
	v_fma_f64 v[164:165], v[174:175], -0.5, v[124:125]
	v_add_f64 v[144:145], v[10:11], -v[16:17]
	v_add_f64 v[150:151], v[150:151], -v[118:119]
	v_fma_f64 v[138:139], v[138:139], -0.5, v[124:125]
	v_add_f64 v[124:125], v[124:125], v[10:11]
	v_add_f64 v[174:175], v[132:133], -v[197:198]
	v_fma_f64 v[108:109], v[134:135], s[0:1], v[154:155]
	v_fma_f64 v[112:113], v[134:135], s[0:1], v[106:107]
	v_fma_f64 v[106:107], v[158:159], -0.5, v[223:224]
	v_add_f64 v[134:135], v[4:5], -v[140:141]
	v_fma_f64 v[128:129], v[128:129], s[6:7], v[166:167]
	v_add_f64 v[148:149], v[178:179], v[168:169]
	v_add_f64 v[154:155], v[170:171], v[172:173]
	v_add_f64 v[158:159], v[122:123], -v[132:133]
	v_fma_f64 v[166:167], v[142:143], s[10:11], v[136:137]
	v_fma_f64 v[136:137], v[142:143], s[8:9], v[136:137]
	v_add_f64 v[168:169], v[120:121], -v[197:198]
	v_add_f64 v[170:171], v[160:161], -v[156:157]
	v_fma_f64 v[172:173], v[114:115], s[8:9], v[130:131]
	v_fma_f64 v[130:131], v[114:115], s[10:11], v[130:131]
	v_add_f64 v[118:119], v[118:119], v[126:127]
	v_add_f64 v[126:127], v[122:123], -v[120:121]
	v_add_f64 v[120:121], v[120:121], -v[122:123]
	v_add_f64 v[122:123], v[122:123], v[152:153]
	v_add_f64 v[152:153], v[4:5], -v[10:11]
	v_add_f64 v[10:11], v[10:11], -v[4:5]
	v_add_f64 v[4:5], v[4:5], v[124:125]
	v_fma_f64 v[110:111], v[110:111], -0.5, v[223:224]
	v_add_f64 v[178:179], v[197:198], -v[132:133]
	v_add_f64 v[182:183], v[140:141], -v[16:17]
	;; [unrolled: 1-line block ×3, first 2 shown]
	v_fma_f64 v[176:177], v[134:135], s[8:9], v[106:107]
	v_fma_f64 v[106:107], v[134:135], s[10:11], v[106:107]
	v_add_f64 v[124:125], v[146:147], v[148:149]
	v_fma_f64 v[54:55], v[207:208], s[0:1], v[215:216]
	v_fma_f64 v[184:185], v[158:159], s[10:11], v[164:165]
	v_fma_f64 v[166:167], v[114:115], s[6:7], v[166:167]
	v_fma_f64 v[114:115], v[114:115], s[4:5], v[136:137]
	v_fma_f64 v[164:165], v[158:159], s[8:9], v[164:165]
	v_add_f64 v[136:137], v[150:151], v[170:171]
	v_fma_f64 v[150:151], v[142:143], s[6:7], v[172:173]
	v_fma_f64 v[130:131], v[142:143], s[4:5], v[130:131]
	v_add_f64 v[142:143], v[118:119], v[156:157]
	v_add_f64 v[126:127], v[126:127], v[174:175]
	v_fma_f64 v[188:189], v[168:169], s[8:9], v[138:139]
	v_add_f64 v[174:175], v[132:133], v[122:123]
	v_fma_f64 v[138:139], v[168:169], s[10:11], v[138:139]
	;; [unrolled: 2-line block ×3, first 2 shown]
	v_fma_f64 v[110:111], v[144:145], s[8:9], v[110:111]
	v_add_f64 v[170:171], v[120:121], v[178:179]
	v_fma_f64 v[120:121], v[162:163], s[0:1], v[128:129]
	v_fma_f64 v[156:157], v[144:145], s[4:5], v[176:177]
	;; [unrolled: 1-line block ×3, first 2 shown]
	v_add_f64 v[146:147], v[152:153], v[182:183]
	v_add_f64 v[10:11], v[10:11], v[186:187]
	v_fma_f64 v[148:149], v[168:169], s[6:7], v[184:185]
	v_fma_f64 v[106:107], v[154:155], s[0:1], v[166:167]
	;; [unrolled: 1-line block ×4, first 2 shown]
	v_add_f64 v[122:123], v[142:143], v[160:161]
	v_fma_f64 v[162:163], v[158:159], s[6:7], v[188:189]
	v_fma_f64 v[138:139], v[158:159], s[4:5], v[138:139]
	v_mad_u64_u32 v[158:159], null, s2, v234, 0
	v_add_f64 v[142:143], v[4:5], v[16:17]
	s_clause 0x1
	buffer_load_dword v4, off, s[60:63], 0 offset:24
	buffer_load_dword v5, off, s[60:63], 0 offset:28
	v_fma_f64 v[172:173], v[134:135], s[4:5], v[180:181]
	v_fma_f64 v[134:135], v[134:135], s[6:7], v[110:111]
	;; [unrolled: 1-line block ×4, first 2 shown]
	v_mov_b32_e32 v126, v159
	v_fma_f64 v[110:111], v[154:155], s[0:1], v[114:115]
	v_fma_f64 v[114:115], v[136:137], s[0:1], v[150:151]
	v_add_f64 v[144:145], v[197:198], v[174:175]
	v_add_nc_u32_e32 v156, 0x165, v234
	v_mad_u64_u32 v[150:151], null, s3, v234, v[126:127]
	v_add_nc_u32_e32 v151, 0x77, v234
	v_fma_f64 v[130:131], v[146:147], s[0:1], v[152:153]
	v_add_nc_u32_e32 v152, 0xee, v234
	v_add_nc_u32_e32 v153, 0x1dc, v234
	v_fma_f64 v[126:127], v[146:147], s[0:1], v[148:149]
	v_mad_u64_u32 v[154:155], null, s2, v151, 0
	v_fma_f64 v[138:139], v[10:11], s[0:1], v[138:139]
	v_mad_u64_u32 v[16:17], null, s2, v152, 0
	v_mov_b32_e32 v159, v150
	v_mad_u64_u32 v[148:149], null, s2, v156, 0
	v_fma_f64 v[140:141], v[170:171], s[0:1], v[134:135]
	v_fma_f64 v[134:135], v[10:11], s[0:1], v[162:163]
	v_mov_b32_e32 v10, v155
	v_lshlrev_b64 v[146:147], 4, v[158:159]
	v_fma_f64 v[136:137], v[170:171], s[0:1], v[172:173]
	v_mad_u64_u32 v[10:11], null, s3, v151, v[10:11]
	v_mov_b32_e32 v11, v17
	v_mad_u64_u32 v[150:151], null, s2, v153, 0
	v_mov_b32_e32 v155, v10
	;; [unrolled: 2-line block ×3, first 2 shown]
	v_mov_b32_e32 v17, v151
	v_add_nc_u32_e32 v152, 17, v234
	s_waitcnt vmcnt(1)
	v_add_co_u32 v4, vcc_lo, s12, v4
	s_waitcnt vmcnt(0)
	v_add_co_ci_u32_e32 v5, vcc_lo, s13, v5, vcc_lo
	v_add_co_u32 v146, vcc_lo, v4, v146
	v_add_co_ci_u32_e32 v147, vcc_lo, v5, v147, vcc_lo
	global_store_dwordx4 v[146:147], v[142:145], off
	v_mad_u64_u32 v[144:145], null, s3, v156, v[11:12]
	v_mad_u64_u32 v[145:146], null, s3, v153, v[17:18]
	v_mov_b32_e32 v17, v10
	v_lshlrev_b64 v[142:143], 4, v[154:155]
	v_add_nc_u32_e32 v153, 0x88, v234
	v_add_nc_u32_e32 v154, 0xff, v234
	v_mov_b32_e32 v149, v144
	v_lshlrev_b64 v[16:17], 4, v[16:17]
	v_mov_b32_e32 v151, v145
	v_add_co_u32 v10, vcc_lo, v4, v142
	v_lshlrev_b64 v[144:145], 4, v[148:149]
	v_add_co_ci_u32_e32 v11, vcc_lo, v5, v143, vcc_lo
	v_add_co_u32 v16, vcc_lo, v4, v16
	v_lshlrev_b64 v[146:147], 4, v[150:151]
	v_add_co_ci_u32_e32 v17, vcc_lo, v5, v17, vcc_lo
	v_add_co_u32 v144, vcc_lo, v4, v144
	v_add_co_ci_u32_e32 v145, vcc_lo, v5, v145, vcc_lo
	v_add_co_u32 v146, vcc_lo, v4, v146
	v_add_co_ci_u32_e32 v147, vcc_lo, v5, v147, vcc_lo
	global_store_dwordx4 v[10:11], v[138:141], off
	global_store_dwordx4 v[16:17], v[130:133], off
	;; [unrolled: 1-line block ×4, first 2 shown]
	buffer_load_dword v136, off, s[60:63], 0 offset:384 ; 4-byte Folded Reload
	v_mad_u64_u32 v[142:143], null, s2, v152, 0
	v_mad_u64_u32 v[148:149], null, s2, v153, 0
	v_add_nc_u32_e32 v132, 0x176, v234
	v_add_nc_u32_e32 v134, 0x1ed, v234
	v_mad_u64_u32 v[150:151], null, s3, v152, v[143:144]
	v_mov_b32_e32 v143, v149
	v_mad_u64_u32 v[126:127], null, s2, v132, 0
	v_mad_u64_u32 v[130:131], null, s2, v134, 0
	;; [unrolled: 1-line block ×4, first 2 shown]
	v_mov_b32_e32 v143, v150
	v_mov_b32_e32 v149, v151
	v_lshlrev_b64 v[10:11], 4, v[142:143]
	v_mov_b32_e32 v16, v153
	v_lshlrev_b64 v[128:129], 4, v[148:149]
	v_add_co_u32 v10, vcc_lo, v4, v10
	v_add_co_ci_u32_e32 v11, vcc_lo, v5, v11, vcc_lo
	v_mad_u64_u32 v[16:17], null, s3, v154, v[16:17]
	v_mov_b32_e32 v17, v127
	v_add_co_u32 v127, vcc_lo, v4, v128
	v_add_co_ci_u32_e32 v128, vcc_lo, v5, v129, vcc_lo
	global_store_dwordx4 v[10:11], v[122:125], off
	global_store_dwordx4 v[127:128], v[118:121], off
	v_mov_b32_e32 v10, v131
	v_mad_u64_u32 v[132:133], null, s3, v132, v[17:18]
	v_mov_b32_e32 v153, v16
	v_mad_u64_u32 v[10:11], null, s3, v134, v[10:11]
	v_lshlrev_b64 v[16:17], 4, v[152:153]
	v_mov_b32_e32 v127, v132
	v_mov_b32_e32 v131, v10
	v_lshlrev_b64 v[120:121], 4, v[126:127]
	v_add_co_u32 v16, vcc_lo, v4, v16
	v_add_co_ci_u32_e32 v17, vcc_lo, v5, v17, vcc_lo
	v_lshlrev_b64 v[124:125], 4, v[130:131]
	v_add_co_u32 v120, vcc_lo, v4, v120
	v_add_co_ci_u32_e32 v121, vcc_lo, v5, v121, vcc_lo
	s_waitcnt vmcnt(0)
	v_mul_hi_u32 v135, 0x44d72045, v136
	v_lshrrev_b32_e32 v129, 5, v135
	v_mad_u32_u24 v128, 0x1dc, v129, v136
	v_mad_u64_u32 v[118:119], null, s2, v128, 0
	v_add_nc_u32_e32 v129, 0x77, v128
	v_add_nc_u32_e32 v130, 0xee, v128
	v_mad_u64_u32 v[122:123], null, s2, v129, 0
	v_mov_b32_e32 v10, v119
	v_mad_u64_u32 v[10:11], null, s3, v128, v[10:11]
	v_mov_b32_e32 v11, v123
	v_add_co_u32 v123, vcc_lo, v4, v124
	v_add_co_ci_u32_e32 v124, vcc_lo, v5, v125, vcc_lo
	global_store_dwordx4 v[16:17], v[110:113], off
	global_store_dwordx4 v[120:121], v[106:109], off
	;; [unrolled: 1-line block ×3, first 2 shown]
	buffer_load_dword v116, off, s[60:63], 0 offset:380 ; 4-byte Folded Reload
	v_mad_u64_u32 v[125:126], null, s3, v129, v[11:12]
	v_mad_u64_u32 v[126:127], null, s2, v130, 0
	v_mov_b32_e32 v119, v10
	v_add_nc_u32_e32 v112, 0x165, v128
	v_add_nc_u32_e32 v114, 0x1dc, v128
	v_mov_b32_e32 v123, v125
	v_lshlrev_b64 v[10:11], 4, v[118:119]
	v_mad_u64_u32 v[106:107], null, s2, v112, 0
	v_mov_b32_e32 v16, v127
	v_lshlrev_b64 v[108:109], 4, v[122:123]
	v_mad_u64_u32 v[110:111], null, s2, v114, 0
	v_add_co_u32 v10, vcc_lo, v4, v10
	v_add_co_ci_u32_e32 v11, vcc_lo, v5, v11, vcc_lo
	v_mad_u64_u32 v[16:17], null, s3, v130, v[16:17]
	v_mov_b32_e32 v17, v107
	v_add_co_u32 v107, vcc_lo, v4, v108
	v_add_co_ci_u32_e32 v108, vcc_lo, v5, v109, vcc_lo
	global_store_dwordx4 v[10:11], v[102:105], off
	global_store_dwordx4 v[107:108], v[98:101], off
	v_mov_b32_e32 v10, v111
	v_mad_u64_u32 v[112:113], null, s3, v112, v[17:18]
	v_mov_b32_e32 v127, v16
	v_mad_u64_u32 v[10:11], null, s3, v114, v[10:11]
	v_lshlrev_b64 v[16:17], 4, v[126:127]
	v_mov_b32_e32 v107, v112
	v_mov_b32_e32 v111, v10
	v_lshlrev_b64 v[100:101], 4, v[106:107]
	v_add_co_u32 v16, vcc_lo, v4, v16
	v_add_co_ci_u32_e32 v17, vcc_lo, v5, v17, vcc_lo
	v_lshlrev_b64 v[104:105], 4, v[110:111]
	v_add_co_u32 v100, vcc_lo, v4, v100
	v_add_co_ci_u32_e32 v101, vcc_lo, v5, v101, vcc_lo
	s_waitcnt vmcnt(0)
	v_mul_hi_u32 v115, 0x44d72045, v116
	v_lshrrev_b32_e32 v109, 5, v115
	v_mad_u32_u24 v108, 0x1dc, v109, v116
	v_mad_u64_u32 v[98:99], null, s2, v108, 0
	v_add_nc_u32_e32 v109, 0x77, v108
	v_add_nc_u32_e32 v110, 0xee, v108
	v_mad_u64_u32 v[102:103], null, s2, v109, 0
	v_mov_b32_e32 v10, v99
	v_mad_u64_u32 v[10:11], null, s3, v108, v[10:11]
	v_mov_b32_e32 v11, v103
	v_add_co_u32 v103, vcc_lo, v4, v104
	v_add_co_ci_u32_e32 v104, vcc_lo, v5, v105, vcc_lo
	global_store_dwordx4 v[16:17], v[94:97], off
	global_store_dwordx4 v[100:101], v[6:9], off
	;; [unrolled: 1-line block ×3, first 2 shown]
	buffer_load_dword v96, off, s[60:63], 0 offset:376 ; 4-byte Folded Reload
	v_mad_u64_u32 v[105:106], null, s3, v109, v[11:12]
	v_mad_u64_u32 v[106:107], null, s2, v110, 0
	v_add_nc_u32_e32 v93, 0x165, v108
	v_mov_b32_e32 v99, v10
	v_add_nc_u32_e32 v94, 0x1dc, v108
	v_mov_b32_e32 v103, v105
	v_mad_u64_u32 v[9:10], null, s2, v93, 0
	v_mov_b32_e32 v8, v107
	v_lshlrev_b64 v[6:7], 4, v[98:99]
	v_lshlrev_b64 v[16:17], 4, v[102:103]
	v_mad_u64_u32 v[90:91], null, s3, v110, v[8:9]
	v_add_co_u32 v6, vcc_lo, v4, v6
	v_mov_b32_e32 v8, v10
	v_add_co_ci_u32_e32 v7, vcc_lo, v5, v7, vcc_lo
	v_mad_u64_u32 v[91:92], null, s2, v94, 0
	v_add_co_u32 v10, vcc_lo, v4, v16
	v_mov_b32_e32 v107, v90
	v_add_co_ci_u32_e32 v11, vcc_lo, v5, v17, vcc_lo
	v_mad_u64_u32 v[16:17], null, s3, v93, v[8:9]
	global_store_dwordx4 v[6:7], v[58:61], off
	global_store_dwordx4 v[10:11], v[86:89], off
	v_lshlrev_b64 v[7:8], 4, v[106:107]
	v_mov_b32_e32 v6, v92
	v_mov_b32_e32 v10, v16
	s_waitcnt vmcnt(0)
	v_mul_hi_u32 v95, 0x44d72045, v96
	v_lshrrev_b32_e32 v17, 5, v95
	v_mad_u32_u24 v90, 0x1dc, v17, v96
	v_mad_u64_u32 v[16:17], null, s3, v94, v[6:7]
	v_add_co_u32 v6, vcc_lo, v4, v7
	v_mad_u64_u32 v[58:59], null, s2, v90, 0
	v_add_nc_u32_e32 v61, 0x77, v90
	v_add_co_ci_u32_e32 v7, vcc_lo, v5, v8, vcc_lo
	v_mov_b32_e32 v92, v16
	v_lshlrev_b64 v[8:9], 4, v[9:10]
	v_mad_u64_u32 v[16:17], null, s2, v61, 0
	v_mov_b32_e32 v10, v59
	v_lshlrev_b64 v[59:60], 4, v[91:92]
	v_add_nc_u32_e32 v91, 0xee, v90
	v_add_co_u32 v8, vcc_lo, v4, v8
	v_mad_u64_u32 v[10:11], null, s3, v90, v[10:11]
	v_mov_b32_e32 v11, v17
	v_add_co_ci_u32_e32 v9, vcc_lo, v5, v9, vcc_lo
	v_add_co_u32 v86, vcc_lo, v4, v59
	v_add_co_ci_u32_e32 v87, vcc_lo, v5, v60, vcc_lo
	v_mad_u64_u32 v[60:61], null, s3, v61, v[11:12]
	v_mad_u64_u32 v[88:89], null, s2, v91, 0
	v_add_nc_u32_e32 v61, 0x165, v90
	v_mov_b32_e32 v59, v10
	global_store_dwordx4 v[6:7], v[82:85], off
	global_store_dwordx4 v[8:9], v[74:77], off
	;; [unrolled: 1-line block ×3, first 2 shown]
	v_add_nc_u32_e32 v74, 0x1dc, v90
	v_mov_b32_e32 v17, v60
	v_mad_u64_u32 v[9:10], null, s2, v61, 0
	v_mov_b32_e32 v8, v89
	v_lshlrev_b64 v[6:7], 4, v[58:59]
	v_lshlrev_b64 v[16:17], 4, v[16:17]
	v_mul_hi_u32 v75, 0x44d72045, v246
	v_mad_u64_u32 v[58:59], null, s3, v91, v[8:9]
	v_add_co_u32 v6, vcc_lo, v4, v6
	v_add_co_ci_u32_e32 v7, vcc_lo, v5, v7, vcc_lo
	v_mov_b32_e32 v8, v10
	v_mad_u64_u32 v[59:60], null, s2, v74, 0
	v_add_co_u32 v10, vcc_lo, v4, v16
	v_mov_b32_e32 v89, v58
	v_add_co_ci_u32_e32 v11, vcc_lo, v5, v17, vcc_lo
	v_mad_u64_u32 v[16:17], null, s3, v61, v[8:9]
	global_store_dwordx4 v[6:7], v[46:49], off
	global_store_dwordx4 v[10:11], v[70:73], off
	v_lshlrev_b64 v[7:8], 4, v[88:89]
	v_lshrrev_b32_e32 v17, 5, v75
	v_mov_b32_e32 v6, v60
	v_mov_b32_e32 v10, v16
	v_mad_u32_u24 v49, 0x1dc, v17, v246
	v_mad_u64_u32 v[16:17], null, s3, v74, v[6:7]
	v_add_co_u32 v6, vcc_lo, v4, v7
	v_mad_u64_u32 v[46:47], null, s2, v49, 0
	v_add_co_ci_u32_e32 v7, vcc_lo, v5, v8, vcc_lo
	v_lshlrev_b64 v[8:9], 4, v[9:10]
	v_mov_b32_e32 v60, v16
	v_add_nc_u32_e32 v58, 0x77, v49
	v_mov_b32_e32 v10, v47
	v_add_co_u32 v8, vcc_lo, v4, v8
	v_lshlrev_b64 v[47:48], 4, v[59:60]
	v_add_co_ci_u32_e32 v9, vcc_lo, v5, v9, vcc_lo
	v_mad_u64_u32 v[16:17], null, s2, v58, 0
	v_mad_u64_u32 v[10:11], null, s3, v49, v[10:11]
	global_store_dwordx4 v[6:7], v[66:69], off
	global_store_dwordx4 v[8:9], v[62:65], off
	v_add_co_u32 v7, vcc_lo, v4, v47
	v_add_co_ci_u32_e32 v8, vcc_lo, v5, v48, vcc_lo
	v_mov_b32_e32 v6, v17
	v_mov_b32_e32 v47, v10
	v_add_nc_u32_e32 v48, 0xee, v49
	global_store_dwordx4 v[7:8], v[54:57], off
	v_add_nc_u32_e32 v54, 0x165, v49
	v_mad_u64_u32 v[9:10], null, s3, v58, v[6:7]
	v_lshlrev_b64 v[6:7], 4, v[46:47]
	v_mad_u64_u32 v[10:11], null, s2, v48, 0
	v_mad_u64_u32 v[46:47], null, s2, v54, 0
	v_add_nc_u32_e32 v55, 0x1dc, v49
	v_mov_b32_e32 v17, v9
	v_add_co_u32 v6, vcc_lo, v4, v6
	v_mov_b32_e32 v8, v11
	v_add_co_ci_u32_e32 v7, vcc_lo, v5, v7, vcc_lo
	v_mov_b32_e32 v9, v47
	v_lshlrev_b64 v[16:17], 4, v[16:17]
	global_store_dwordx4 v[6:7], v[26:29], off
	v_mad_u64_u32 v[47:48], null, s3, v48, v[8:9]
	v_mad_u64_u32 v[8:9], null, s3, v54, v[9:10]
	;; [unrolled: 1-line block ×3, first 2 shown]
	v_mul_hi_u32 v54, 0x44d72045, v245
	v_add_co_u32 v16, vcc_lo, v4, v16
	v_mov_b32_e32 v11, v47
	v_mov_b32_e32 v47, v8
	v_add_co_ci_u32_e32 v17, vcc_lo, v5, v17, vcc_lo
	v_mov_b32_e32 v6, v49
	v_lshlrev_b64 v[7:8], 4, v[10:11]
	v_lshlrev_b64 v[9:10], 4, v[46:47]
	v_lshrrev_b32_e32 v11, 5, v54
	global_store_dwordx4 v[16:17], v[50:53], off
	v_mad_u64_u32 v[16:17], null, s3, v55, v[6:7]
	v_add_co_u32 v6, vcc_lo, v4, v7
	v_add_co_ci_u32_e32 v7, vcc_lo, v5, v8, vcc_lo
	v_add_co_u32 v8, vcc_lo, v4, v9
	v_mad_u32_u24 v46, 0x1dc, v11, v245
	v_add_co_ci_u32_e32 v9, vcc_lo, v5, v10, vcc_lo
	global_store_dwordx4 v[6:7], v[42:45], off
	v_mov_b32_e32 v49, v16
	v_add_nc_u32_e32 v28, 0x77, v46
	global_store_dwordx4 v[8:9], v[38:41], off
	v_add_nc_u32_e32 v38, 0xee, v46
	v_mad_u64_u32 v[10:11], null, s2, v46, 0
	v_mad_u64_u32 v[8:9], null, s2, v28, 0
	;; [unrolled: 1-line block ×3, first 2 shown]
	v_lshlrev_b64 v[6:7], 4, v[48:49]
	v_add_nc_u32_e32 v41, 0x165, v46
	v_mad_u64_u32 v[26:27], null, s3, v46, v[11:12]
	v_mad_u64_u32 v[27:28], null, s3, v28, v[9:10]
	v_mov_b32_e32 v9, v17
	v_mad_u64_u32 v[28:29], null, s2, v41, 0
	v_add_co_u32 v6, vcc_lo, v4, v6
	v_add_nc_u32_e32 v42, 0x1dc, v46
	v_add_co_ci_u32_e32 v7, vcc_lo, v5, v7, vcc_lo
	v_mad_u64_u32 v[38:39], null, s3, v38, v[9:10]
	v_mad_u64_u32 v[39:40], null, s2, v42, 0
	global_store_dwordx4 v[6:7], v[34:37], off
	v_mov_b32_e32 v6, v29
	v_mov_b32_e32 v9, v27
	;; [unrolled: 1-line block ×4, first 2 shown]
	v_mad_u64_u32 v[6:7], null, s3, v41, v[6:7]
	v_lshlrev_b64 v[8:9], 4, v[8:9]
	v_mov_b32_e32 v7, v40
	v_lshlrev_b64 v[10:11], 4, v[10:11]
	v_lshlrev_b64 v[16:17], 4, v[16:17]
	v_mad_u64_u32 v[26:27], null, s3, v42, v[7:8]
	v_add_co_u32 v10, vcc_lo, v4, v10
	v_mov_b32_e32 v29, v6
	v_add_co_ci_u32_e32 v11, vcc_lo, v5, v11, vcc_lo
	v_add_co_u32 v6, vcc_lo, v4, v8
	v_mov_b32_e32 v40, v26
	v_add_co_ci_u32_e32 v7, vcc_lo, v5, v9, vcc_lo
	v_lshlrev_b64 v[8:9], 4, v[28:29]
	v_add_co_u32 v16, vcc_lo, v4, v16
	v_lshlrev_b64 v[26:27], 4, v[39:40]
	v_add_co_ci_u32_e32 v17, vcc_lo, v5, v17, vcc_lo
	v_add_co_u32 v8, vcc_lo, v4, v8
	v_add_co_ci_u32_e32 v9, vcc_lo, v5, v9, vcc_lo
	v_add_co_u32 v4, vcc_lo, v4, v26
	v_add_co_ci_u32_e32 v5, vcc_lo, v5, v27, vcc_lo
	global_store_dwordx4 v[10:11], v[0:3], off
	global_store_dwordx4 v[6:7], v[30:33], off
	;; [unrolled: 1-line block ×5, first 2 shown]
.LBB0_22:
	s_endpgm
	.section	.rodata,"a",@progbits
	.p2align	6, 0x0
	.amdhsa_kernel fft_rtc_fwd_len595_factors_7_17_5_wgs_51_tpt_17_halfLds_dp_ip_CI_sbrr_dirReg
		.amdhsa_group_segment_fixed_size 0
		.amdhsa_private_segment_fixed_size 392
		.amdhsa_kernarg_size 88
		.amdhsa_user_sgpr_count 6
		.amdhsa_user_sgpr_private_segment_buffer 1
		.amdhsa_user_sgpr_dispatch_ptr 0
		.amdhsa_user_sgpr_queue_ptr 0
		.amdhsa_user_sgpr_kernarg_segment_ptr 1
		.amdhsa_user_sgpr_dispatch_id 0
		.amdhsa_user_sgpr_flat_scratch_init 0
		.amdhsa_user_sgpr_private_segment_size 0
		.amdhsa_wavefront_size32 1
		.amdhsa_uses_dynamic_stack 0
		.amdhsa_system_sgpr_private_segment_wavefront_offset 1
		.amdhsa_system_sgpr_workgroup_id_x 1
		.amdhsa_system_sgpr_workgroup_id_y 0
		.amdhsa_system_sgpr_workgroup_id_z 0
		.amdhsa_system_sgpr_workgroup_info 0
		.amdhsa_system_vgpr_workitem_id 0
		.amdhsa_next_free_vgpr 256
		.amdhsa_next_free_sgpr 64
		.amdhsa_reserve_vcc 1
		.amdhsa_reserve_flat_scratch 0
		.amdhsa_float_round_mode_32 0
		.amdhsa_float_round_mode_16_64 0
		.amdhsa_float_denorm_mode_32 3
		.amdhsa_float_denorm_mode_16_64 3
		.amdhsa_dx10_clamp 1
		.amdhsa_ieee_mode 1
		.amdhsa_fp16_overflow 0
		.amdhsa_workgroup_processor_mode 1
		.amdhsa_memory_ordered 1
		.amdhsa_forward_progress 0
		.amdhsa_shared_vgpr_count 0
		.amdhsa_exception_fp_ieee_invalid_op 0
		.amdhsa_exception_fp_denorm_src 0
		.amdhsa_exception_fp_ieee_div_zero 0
		.amdhsa_exception_fp_ieee_overflow 0
		.amdhsa_exception_fp_ieee_underflow 0
		.amdhsa_exception_fp_ieee_inexact 0
		.amdhsa_exception_int_div_zero 0
	.end_amdhsa_kernel
	.text
.Lfunc_end0:
	.size	fft_rtc_fwd_len595_factors_7_17_5_wgs_51_tpt_17_halfLds_dp_ip_CI_sbrr_dirReg, .Lfunc_end0-fft_rtc_fwd_len595_factors_7_17_5_wgs_51_tpt_17_halfLds_dp_ip_CI_sbrr_dirReg
                                        ; -- End function
	.section	.AMDGPU.csdata,"",@progbits
; Kernel info:
; codeLenInByte = 38580
; NumSgprs: 66
; NumVgprs: 256
; ScratchSize: 392
; MemoryBound: 1
; FloatMode: 240
; IeeeMode: 1
; LDSByteSize: 0 bytes/workgroup (compile time only)
; SGPRBlocks: 8
; VGPRBlocks: 31
; NumSGPRsForWavesPerEU: 66
; NumVGPRsForWavesPerEU: 256
; Occupancy: 4
; WaveLimiterHint : 1
; COMPUTE_PGM_RSRC2:SCRATCH_EN: 1
; COMPUTE_PGM_RSRC2:USER_SGPR: 6
; COMPUTE_PGM_RSRC2:TRAP_HANDLER: 0
; COMPUTE_PGM_RSRC2:TGID_X_EN: 1
; COMPUTE_PGM_RSRC2:TGID_Y_EN: 0
; COMPUTE_PGM_RSRC2:TGID_Z_EN: 0
; COMPUTE_PGM_RSRC2:TIDIG_COMP_CNT: 0
	.text
	.p2alignl 6, 3214868480
	.fill 48, 4, 3214868480
	.type	__hip_cuid_6a5b3c1abdd2f505,@object ; @__hip_cuid_6a5b3c1abdd2f505
	.section	.bss,"aw",@nobits
	.globl	__hip_cuid_6a5b3c1abdd2f505
__hip_cuid_6a5b3c1abdd2f505:
	.byte	0                               ; 0x0
	.size	__hip_cuid_6a5b3c1abdd2f505, 1

	.ident	"AMD clang version 19.0.0git (https://github.com/RadeonOpenCompute/llvm-project roc-6.4.0 25133 c7fe45cf4b819c5991fe208aaa96edf142730f1d)"
	.section	".note.GNU-stack","",@progbits
	.addrsig
	.addrsig_sym __hip_cuid_6a5b3c1abdd2f505
	.amdgpu_metadata
---
amdhsa.kernels:
  - .args:
      - .actual_access:  read_only
        .address_space:  global
        .offset:         0
        .size:           8
        .value_kind:     global_buffer
      - .offset:         8
        .size:           8
        .value_kind:     by_value
      - .actual_access:  read_only
        .address_space:  global
        .offset:         16
        .size:           8
        .value_kind:     global_buffer
      - .actual_access:  read_only
        .address_space:  global
        .offset:         24
        .size:           8
        .value_kind:     global_buffer
      - .offset:         32
        .size:           8
        .value_kind:     by_value
      - .actual_access:  read_only
        .address_space:  global
        .offset:         40
        .size:           8
        .value_kind:     global_buffer
      - .actual_access:  read_only
        .address_space:  global
        .offset:         48
        .size:           8
        .value_kind:     global_buffer
      - .offset:         56
        .size:           4
        .value_kind:     by_value
      - .actual_access:  read_only
        .address_space:  global
        .offset:         64
        .size:           8
        .value_kind:     global_buffer
      - .actual_access:  read_only
        .address_space:  global
        .offset:         72
        .size:           8
        .value_kind:     global_buffer
      - .address_space:  global
        .offset:         80
        .size:           8
        .value_kind:     global_buffer
    .group_segment_fixed_size: 0
    .kernarg_segment_align: 8
    .kernarg_segment_size: 88
    .language:       OpenCL C
    .language_version:
      - 2
      - 0
    .max_flat_workgroup_size: 51
    .name:           fft_rtc_fwd_len595_factors_7_17_5_wgs_51_tpt_17_halfLds_dp_ip_CI_sbrr_dirReg
    .private_segment_fixed_size: 392
    .sgpr_count:     66
    .sgpr_spill_count: 0
    .symbol:         fft_rtc_fwd_len595_factors_7_17_5_wgs_51_tpt_17_halfLds_dp_ip_CI_sbrr_dirReg.kd
    .uniform_work_group_size: 1
    .uses_dynamic_stack: false
    .vgpr_count:     256
    .vgpr_spill_count: 99
    .wavefront_size: 32
    .workgroup_processor_mode: 1
amdhsa.target:   amdgcn-amd-amdhsa--gfx1030
amdhsa.version:
  - 1
  - 2
...

	.end_amdgpu_metadata
